;; amdgpu-corpus repo=ROCm/rocFFT kind=compiled arch=gfx1201 opt=O3
	.text
	.amdgcn_target "amdgcn-amd-amdhsa--gfx1201"
	.amdhsa_code_object_version 6
	.protected	fft_rtc_back_len320_factors_10_4_4_2_wgs_64_tpt_16_halfLds_dp_op_CI_CI_unitstride_sbrr_dirReg ; -- Begin function fft_rtc_back_len320_factors_10_4_4_2_wgs_64_tpt_16_halfLds_dp_op_CI_CI_unitstride_sbrr_dirReg
	.globl	fft_rtc_back_len320_factors_10_4_4_2_wgs_64_tpt_16_halfLds_dp_op_CI_CI_unitstride_sbrr_dirReg
	.p2align	8
	.type	fft_rtc_back_len320_factors_10_4_4_2_wgs_64_tpt_16_halfLds_dp_op_CI_CI_unitstride_sbrr_dirReg,@function
fft_rtc_back_len320_factors_10_4_4_2_wgs_64_tpt_16_halfLds_dp_op_CI_CI_unitstride_sbrr_dirReg: ; @fft_rtc_back_len320_factors_10_4_4_2_wgs_64_tpt_16_halfLds_dp_op_CI_CI_unitstride_sbrr_dirReg
; %bb.0:
	s_clause 0x2
	s_load_b128 s[8:11], s[0:1], 0x0
	s_load_b128 s[4:7], s[0:1], 0x58
	;; [unrolled: 1-line block ×3, first 2 shown]
	v_lshrrev_b32_e32 v81, 4, v0
	v_dual_mov_b32 v1, 0 :: v_dual_mov_b32 v4, 0
	v_mov_b32_e32 v5, 0
	s_delay_alu instid0(VALU_DEP_3) | instskip(NEXT) | instid1(VALU_DEP_3)
	v_lshl_or_b32 v6, ttmp9, 2, v81
	v_mov_b32_e32 v7, v1
	s_wait_kmcnt 0x0
	v_cmp_lt_u64_e64 s2, s[10:11], 2
	s_delay_alu instid0(VALU_DEP_1)
	s_and_b32 vcc_lo, exec_lo, s2
	s_cbranch_vccnz .LBB0_8
; %bb.1:
	s_load_b64 s[2:3], s[0:1], 0x10
	v_mov_b32_e32 v4, 0
	v_mov_b32_e32 v5, 0
	s_add_nc_u64 s[16:17], s[14:15], 8
	s_add_nc_u64 s[18:19], s[12:13], 8
	s_mov_b64 s[20:21], 1
	s_delay_alu instid0(VALU_DEP_1)
	v_dual_mov_b32 v83, v5 :: v_dual_mov_b32 v82, v4
	s_wait_kmcnt 0x0
	s_add_nc_u64 s[22:23], s[2:3], 8
	s_mov_b32 s3, 0
.LBB0_2:                                ; =>This Inner Loop Header: Depth=1
	s_load_b64 s[24:25], s[22:23], 0x0
                                        ; implicit-def: $vgpr84_vgpr85
	s_mov_b32 s2, exec_lo
	s_wait_kmcnt 0x0
	v_or_b32_e32 v2, s25, v7
	s_delay_alu instid0(VALU_DEP_1)
	v_cmpx_ne_u64_e32 0, v[1:2]
	s_wait_alu 0xfffe
	s_xor_b32 s26, exec_lo, s2
	s_cbranch_execz .LBB0_4
; %bb.3:                                ;   in Loop: Header=BB0_2 Depth=1
	s_cvt_f32_u32 s2, s24
	s_cvt_f32_u32 s27, s25
	s_sub_nc_u64 s[30:31], 0, s[24:25]
	s_wait_alu 0xfffe
	s_delay_alu instid0(SALU_CYCLE_1) | instskip(SKIP_1) | instid1(SALU_CYCLE_2)
	s_fmamk_f32 s2, s27, 0x4f800000, s2
	s_wait_alu 0xfffe
	v_s_rcp_f32 s2, s2
	s_delay_alu instid0(TRANS32_DEP_1) | instskip(SKIP_1) | instid1(SALU_CYCLE_2)
	s_mul_f32 s2, s2, 0x5f7ffffc
	s_wait_alu 0xfffe
	s_mul_f32 s27, s2, 0x2f800000
	s_wait_alu 0xfffe
	s_delay_alu instid0(SALU_CYCLE_2) | instskip(SKIP_1) | instid1(SALU_CYCLE_2)
	s_trunc_f32 s27, s27
	s_wait_alu 0xfffe
	s_fmamk_f32 s2, s27, 0xcf800000, s2
	s_cvt_u32_f32 s29, s27
	s_wait_alu 0xfffe
	s_delay_alu instid0(SALU_CYCLE_1) | instskip(SKIP_1) | instid1(SALU_CYCLE_2)
	s_cvt_u32_f32 s28, s2
	s_wait_alu 0xfffe
	s_mul_u64 s[34:35], s[30:31], s[28:29]
	s_wait_alu 0xfffe
	s_mul_hi_u32 s37, s28, s35
	s_mul_i32 s36, s28, s35
	s_mul_hi_u32 s2, s28, s34
	s_mul_i32 s33, s29, s34
	s_wait_alu 0xfffe
	s_add_nc_u64 s[36:37], s[2:3], s[36:37]
	s_mul_hi_u32 s27, s29, s34
	s_mul_hi_u32 s38, s29, s35
	s_add_co_u32 s2, s36, s33
	s_wait_alu 0xfffe
	s_add_co_ci_u32 s2, s37, s27
	s_mul_i32 s34, s29, s35
	s_add_co_ci_u32 s35, s38, 0
	s_wait_alu 0xfffe
	s_add_nc_u64 s[34:35], s[2:3], s[34:35]
	s_wait_alu 0xfffe
	v_add_co_u32 v2, s2, s28, s34
	s_delay_alu instid0(VALU_DEP_1) | instskip(SKIP_1) | instid1(VALU_DEP_1)
	s_cmp_lg_u32 s2, 0
	s_add_co_ci_u32 s29, s29, s35
	v_readfirstlane_b32 s28, v2
	s_wait_alu 0xfffe
	s_delay_alu instid0(VALU_DEP_1)
	s_mul_u64 s[30:31], s[30:31], s[28:29]
	s_wait_alu 0xfffe
	s_mul_hi_u32 s35, s28, s31
	s_mul_i32 s34, s28, s31
	s_mul_hi_u32 s2, s28, s30
	s_mul_i32 s33, s29, s30
	s_wait_alu 0xfffe
	s_add_nc_u64 s[34:35], s[2:3], s[34:35]
	s_mul_hi_u32 s27, s29, s30
	s_mul_hi_u32 s28, s29, s31
	s_wait_alu 0xfffe
	s_add_co_u32 s2, s34, s33
	s_add_co_ci_u32 s2, s35, s27
	s_mul_i32 s30, s29, s31
	s_add_co_ci_u32 s31, s28, 0
	s_wait_alu 0xfffe
	s_add_nc_u64 s[30:31], s[2:3], s[30:31]
	s_wait_alu 0xfffe
	v_add_co_u32 v8, s2, v2, s30
	s_delay_alu instid0(VALU_DEP_1) | instskip(SKIP_1) | instid1(VALU_DEP_1)
	s_cmp_lg_u32 s2, 0
	s_add_co_ci_u32 s2, s29, s31
	v_mul_hi_u32 v12, v6, v8
	s_wait_alu 0xfffe
	v_mad_co_u64_u32 v[2:3], null, v6, s2, 0
	v_mad_co_u64_u32 v[8:9], null, v7, v8, 0
	;; [unrolled: 1-line block ×3, first 2 shown]
	s_delay_alu instid0(VALU_DEP_3) | instskip(SKIP_1) | instid1(VALU_DEP_4)
	v_add_co_u32 v2, vcc_lo, v12, v2
	s_wait_alu 0xfffd
	v_add_co_ci_u32_e32 v3, vcc_lo, 0, v3, vcc_lo
	s_delay_alu instid0(VALU_DEP_2) | instskip(SKIP_1) | instid1(VALU_DEP_2)
	v_add_co_u32 v2, vcc_lo, v2, v8
	s_wait_alu 0xfffd
	v_add_co_ci_u32_e32 v2, vcc_lo, v3, v9, vcc_lo
	s_wait_alu 0xfffd
	v_add_co_ci_u32_e32 v3, vcc_lo, 0, v11, vcc_lo
	s_delay_alu instid0(VALU_DEP_2) | instskip(SKIP_1) | instid1(VALU_DEP_2)
	v_add_co_u32 v8, vcc_lo, v2, v10
	s_wait_alu 0xfffd
	v_add_co_ci_u32_e32 v9, vcc_lo, 0, v3, vcc_lo
	s_delay_alu instid0(VALU_DEP_2) | instskip(SKIP_1) | instid1(VALU_DEP_3)
	v_mul_lo_u32 v10, s25, v8
	v_mad_co_u64_u32 v[2:3], null, s24, v8, 0
	v_mul_lo_u32 v11, s24, v9
	s_delay_alu instid0(VALU_DEP_2) | instskip(NEXT) | instid1(VALU_DEP_2)
	v_sub_co_u32 v2, vcc_lo, v6, v2
	v_add3_u32 v3, v3, v11, v10
	s_delay_alu instid0(VALU_DEP_1) | instskip(SKIP_1) | instid1(VALU_DEP_1)
	v_sub_nc_u32_e32 v10, v7, v3
	s_wait_alu 0xfffd
	v_subrev_co_ci_u32_e64 v10, s2, s25, v10, vcc_lo
	v_add_co_u32 v11, s2, v8, 2
	s_wait_alu 0xf1ff
	v_add_co_ci_u32_e64 v12, s2, 0, v9, s2
	v_sub_co_u32 v13, s2, v2, s24
	v_sub_co_ci_u32_e32 v3, vcc_lo, v7, v3, vcc_lo
	s_wait_alu 0xf1ff
	v_subrev_co_ci_u32_e64 v10, s2, 0, v10, s2
	s_delay_alu instid0(VALU_DEP_3) | instskip(NEXT) | instid1(VALU_DEP_3)
	v_cmp_le_u32_e32 vcc_lo, s24, v13
	v_cmp_eq_u32_e64 s2, s25, v3
	s_wait_alu 0xfffd
	v_cndmask_b32_e64 v13, 0, -1, vcc_lo
	v_cmp_le_u32_e32 vcc_lo, s25, v10
	s_wait_alu 0xfffd
	v_cndmask_b32_e64 v14, 0, -1, vcc_lo
	v_cmp_le_u32_e32 vcc_lo, s24, v2
	;; [unrolled: 3-line block ×3, first 2 shown]
	s_wait_alu 0xfffd
	v_cndmask_b32_e64 v15, 0, -1, vcc_lo
	v_cmp_eq_u32_e32 vcc_lo, s25, v10
	s_wait_alu 0xf1ff
	s_delay_alu instid0(VALU_DEP_2)
	v_cndmask_b32_e64 v2, v15, v2, s2
	s_wait_alu 0xfffd
	v_cndmask_b32_e32 v10, v14, v13, vcc_lo
	v_add_co_u32 v13, vcc_lo, v8, 1
	s_wait_alu 0xfffd
	v_add_co_ci_u32_e32 v14, vcc_lo, 0, v9, vcc_lo
	s_delay_alu instid0(VALU_DEP_3) | instskip(SKIP_1) | instid1(VALU_DEP_2)
	v_cmp_ne_u32_e32 vcc_lo, 0, v10
	s_wait_alu 0xfffd
	v_dual_cndmask_b32 v3, v14, v12 :: v_dual_cndmask_b32 v10, v13, v11
	v_cmp_ne_u32_e32 vcc_lo, 0, v2
	s_wait_alu 0xfffd
	s_delay_alu instid0(VALU_DEP_2)
	v_dual_cndmask_b32 v85, v9, v3 :: v_dual_cndmask_b32 v84, v8, v10
.LBB0_4:                                ;   in Loop: Header=BB0_2 Depth=1
	s_wait_alu 0xfffe
	s_and_not1_saveexec_b32 s2, s26
	s_cbranch_execz .LBB0_6
; %bb.5:                                ;   in Loop: Header=BB0_2 Depth=1
	v_cvt_f32_u32_e32 v2, s24
	s_sub_co_i32 s26, 0, s24
	v_mov_b32_e32 v85, v1
	s_delay_alu instid0(VALU_DEP_2) | instskip(NEXT) | instid1(TRANS32_DEP_1)
	v_rcp_iflag_f32_e32 v2, v2
	v_mul_f32_e32 v2, 0x4f7ffffe, v2
	s_delay_alu instid0(VALU_DEP_1) | instskip(SKIP_1) | instid1(VALU_DEP_1)
	v_cvt_u32_f32_e32 v2, v2
	s_wait_alu 0xfffe
	v_mul_lo_u32 v3, s26, v2
	s_delay_alu instid0(VALU_DEP_1) | instskip(NEXT) | instid1(VALU_DEP_1)
	v_mul_hi_u32 v3, v2, v3
	v_add_nc_u32_e32 v2, v2, v3
	s_delay_alu instid0(VALU_DEP_1) | instskip(NEXT) | instid1(VALU_DEP_1)
	v_mul_hi_u32 v2, v6, v2
	v_mul_lo_u32 v3, v2, s24
	v_add_nc_u32_e32 v8, 1, v2
	s_delay_alu instid0(VALU_DEP_2) | instskip(NEXT) | instid1(VALU_DEP_1)
	v_sub_nc_u32_e32 v3, v6, v3
	v_subrev_nc_u32_e32 v9, s24, v3
	v_cmp_le_u32_e32 vcc_lo, s24, v3
	s_wait_alu 0xfffd
	s_delay_alu instid0(VALU_DEP_2) | instskip(NEXT) | instid1(VALU_DEP_1)
	v_dual_cndmask_b32 v3, v3, v9 :: v_dual_cndmask_b32 v2, v2, v8
	v_cmp_le_u32_e32 vcc_lo, s24, v3
	s_delay_alu instid0(VALU_DEP_2) | instskip(SKIP_1) | instid1(VALU_DEP_1)
	v_add_nc_u32_e32 v8, 1, v2
	s_wait_alu 0xfffd
	v_cndmask_b32_e32 v84, v2, v8, vcc_lo
.LBB0_6:                                ;   in Loop: Header=BB0_2 Depth=1
	s_wait_alu 0xfffe
	s_or_b32 exec_lo, exec_lo, s2
	v_mul_lo_u32 v8, v85, s24
	s_delay_alu instid0(VALU_DEP_2)
	v_mul_lo_u32 v9, v84, s25
	s_load_b64 s[26:27], s[18:19], 0x0
	v_mad_co_u64_u32 v[2:3], null, v84, s24, 0
	s_load_b64 s[24:25], s[16:17], 0x0
	s_add_nc_u64 s[20:21], s[20:21], 1
	s_add_nc_u64 s[16:17], s[16:17], 8
	s_wait_alu 0xfffe
	v_cmp_ge_u64_e64 s2, s[20:21], s[10:11]
	s_add_nc_u64 s[18:19], s[18:19], 8
	s_add_nc_u64 s[22:23], s[22:23], 8
	v_add3_u32 v3, v3, v9, v8
	v_sub_co_u32 v2, vcc_lo, v6, v2
	s_wait_alu 0xfffd
	s_delay_alu instid0(VALU_DEP_2) | instskip(SKIP_2) | instid1(VALU_DEP_1)
	v_sub_co_ci_u32_e32 v3, vcc_lo, v7, v3, vcc_lo
	s_and_b32 vcc_lo, exec_lo, s2
	s_wait_kmcnt 0x0
	v_mul_lo_u32 v6, s26, v3
	v_mul_lo_u32 v7, s27, v2
	v_mad_co_u64_u32 v[4:5], null, s26, v2, v[4:5]
	v_mul_lo_u32 v3, s24, v3
	v_mul_lo_u32 v8, s25, v2
	v_mad_co_u64_u32 v[82:83], null, s24, v2, v[82:83]
	s_delay_alu instid0(VALU_DEP_4) | instskip(NEXT) | instid1(VALU_DEP_2)
	v_add3_u32 v5, v7, v5, v6
	v_add3_u32 v83, v8, v83, v3
	s_wait_alu 0xfffe
	s_cbranch_vccnz .LBB0_9
; %bb.7:                                ;   in Loop: Header=BB0_2 Depth=1
	v_dual_mov_b32 v6, v84 :: v_dual_mov_b32 v7, v85
	s_branch .LBB0_2
.LBB0_8:
	v_dual_mov_b32 v83, v5 :: v_dual_mov_b32 v82, v4
	v_dual_mov_b32 v85, v7 :: v_dual_mov_b32 v84, v6
.LBB0_9:
	s_load_b64 s[0:1], s[0:1], 0x28
	v_and_b32_e32 v80, 15, v0
	s_lshl_b64 s[10:11], s[10:11], 3
                                        ; implicit-def: $vgpr95
                                        ; implicit-def: $vgpr92
                                        ; implicit-def: $vgpr97
                                        ; implicit-def: $vgpr86
                                        ; implicit-def: $vgpr99
                                        ; implicit-def: $vgpr91
                                        ; implicit-def: $vgpr88
                                        ; implicit-def: $vgpr94
                                        ; implicit-def: $vgpr90
	s_wait_kmcnt 0x0
	v_cmp_gt_u64_e32 vcc_lo, s[0:1], v[84:85]
	v_cmp_le_u64_e64 s0, s[0:1], v[84:85]
	s_delay_alu instid0(VALU_DEP_1)
	s_and_saveexec_b32 s1, s0
	s_wait_alu 0xfffe
	s_xor_b32 s0, exec_lo, s1
; %bb.10:
	v_and_b32_e32 v80, 15, v0
                                        ; implicit-def: $vgpr4_vgpr5
	s_delay_alu instid0(VALU_DEP_1)
	v_or_b32_e32 v95, 16, v80
	v_or_b32_e32 v92, 0x50, v80
	;; [unrolled: 1-line block ×9, first 2 shown]
; %bb.11:
	s_wait_alu 0xfffe
	s_or_saveexec_b32 s1, s0
	s_add_nc_u64 s[2:3], s[14:15], s[10:11]
                                        ; implicit-def: $vgpr34_vgpr35
                                        ; implicit-def: $vgpr66_vgpr67
                                        ; implicit-def: $vgpr62_vgpr63
                                        ; implicit-def: $vgpr70_vgpr71
                                        ; implicit-def: $vgpr22_vgpr23
                                        ; implicit-def: $vgpr30_vgpr31
                                        ; implicit-def: $vgpr38_vgpr39
                                        ; implicit-def: $vgpr54_vgpr55
                                        ; implicit-def: $vgpr14_vgpr15
                                        ; implicit-def: $vgpr2_vgpr3
                                        ; implicit-def: $vgpr6_vgpr7
                                        ; implicit-def: $vgpr10_vgpr11
                                        ; implicit-def: $vgpr58_vgpr59
                                        ; implicit-def: $vgpr42_vgpr43
                                        ; implicit-def: $vgpr46_vgpr47
                                        ; implicit-def: $vgpr18_vgpr19
                                        ; implicit-def: $vgpr74_vgpr75
                                        ; implicit-def: $vgpr78_vgpr79
                                        ; implicit-def: $vgpr50_vgpr51
                                        ; implicit-def: $vgpr26_vgpr27
	s_wait_alu 0xfffe
	s_xor_b32 exec_lo, exec_lo, s1
	s_cbranch_execz .LBB0_13
; %bb.12:
	s_add_nc_u64 s[10:11], s[12:13], s[10:11]
	v_or_b32_e32 v86, 32, v80
	s_load_b64 s[10:11], s[10:11], 0x0
	v_or_b32_e32 v94, 64, v80
	v_or_b32_e32 v97, 0x60, v80
	;; [unrolled: 1-line block ×8, first 2 shown]
	s_wait_kmcnt 0x0
	v_mul_lo_u32 v2, s11, v84
	v_mul_lo_u32 v3, s10, v85
	v_mad_co_u64_u32 v[0:1], null, s10, v84, 0
	s_delay_alu instid0(VALU_DEP_1) | instskip(SKIP_2) | instid1(VALU_DEP_3)
	v_add3_u32 v1, v1, v3, v2
	v_lshlrev_b64_e32 v[2:3], 4, v[4:5]
	v_lshlrev_b32_e32 v4, 4, v80
	v_lshlrev_b64_e32 v[0:1], 4, v[0:1]
	s_delay_alu instid0(VALU_DEP_1) | instskip(SKIP_1) | instid1(VALU_DEP_2)
	v_add_co_u32 v0, s0, s4, v0
	s_wait_alu 0xf1ff
	v_add_co_ci_u32_e64 v1, s0, s5, v1, s0
	s_delay_alu instid0(VALU_DEP_2) | instskip(SKIP_1) | instid1(VALU_DEP_2)
	v_add_co_u32 v0, s0, v0, v2
	s_wait_alu 0xf1ff
	v_add_co_ci_u32_e64 v1, s0, v1, v3, s0
	s_delay_alu instid0(VALU_DEP_2) | instskip(SKIP_1) | instid1(VALU_DEP_2)
	v_add_co_u32 v4, s0, v0, v4
	s_wait_alu 0xf1ff
	v_add_co_ci_u32_e64 v5, s0, 0, v1, s0
	s_clause 0x13
	global_load_b128 v[24:27], v[4:5], off
	global_load_b128 v[28:31], v[4:5], off offset:256
	global_load_b128 v[32:35], v[4:5], off offset:512
	global_load_b128 v[44:47], v[4:5], off offset:768
	global_load_b128 v[64:67], v[4:5], off offset:1024
	global_load_b128 v[40:43], v[4:5], off offset:1280
	global_load_b128 v[48:51], v[4:5], off offset:1536
	global_load_b128 v[36:39], v[4:5], off offset:1792
	global_load_b128 v[76:79], v[4:5], off offset:2048
	global_load_b128 v[52:55], v[4:5], off offset:2304
	global_load_b128 v[60:63], v[4:5], off offset:2560
	global_load_b128 v[56:59], v[4:5], off offset:2816
	global_load_b128 v[68:71], v[4:5], off offset:3072
	global_load_b128 v[8:11], v[4:5], off offset:3328
	global_load_b128 v[72:75], v[4:5], off offset:3584
	global_load_b128 v[12:15], v[4:5], off offset:3840
	global_load_b128 v[16:19], v[4:5], off offset:4096
	global_load_b128 v[0:3], v[4:5], off offset:4352
	global_load_b128 v[20:23], v[4:5], off offset:4608
	global_load_b128 v[4:7], v[4:5], off offset:4864
.LBB0_13:
	s_or_b32 exec_lo, exec_lo, s1
	s_wait_loadcnt 0xd
	v_add_f64_e32 v[124:125], v[34:35], v[50:51]
	s_wait_loadcnt 0x5
	v_add_f64_e32 v[106:107], v[60:61], v[72:73]
	;; [unrolled: 2-line block ×3, first 2 shown]
	v_add_f64_e32 v[122:123], v[32:33], v[48:49]
	v_add_f64_e32 v[110:111], v[62:63], v[74:75]
	;; [unrolled: 1-line block ×3, first 2 shown]
	v_add_f64_e64 v[134:135], v[64:65], -v[76:77]
	v_add_f64_e64 v[136:137], v[76:77], -v[64:65]
	;; [unrolled: 1-line block ×7, first 2 shown]
	s_mov_b32 s12, 0x134454ff
	s_mov_b32 s13, 0xbfee6f0e
	;; [unrolled: 1-line block ×4, first 2 shown]
	v_add_f64_e32 v[102:103], v[64:65], v[24:25]
	v_add_f64_e32 v[104:105], v[66:67], v[26:27]
	v_add_f64_e64 v[154:155], v[48:49], -v[60:61]
	v_add_f64_e64 v[156:157], v[60:61], -v[48:49]
	;; [unrolled: 1-line block ×3, first 2 shown]
	v_add_f64_e32 v[138:139], v[12:13], v[56:57]
	s_wait_loadcnt 0x0
	v_add_f64_e32 v[140:141], v[36:37], v[4:5]
	v_add_f64_e32 v[142:143], v[14:15], v[58:59]
	s_mov_b32 s10, 0x4755a5e
	s_mov_b32 s11, 0xbfe2cf23
	;; [unrolled: 1-line block ×3, first 2 shown]
	s_wait_alu 0xfffe
	s_mov_b32 s4, s10
	v_add_f64_e32 v[114:115], v[68:69], v[76:77]
	v_add_f64_e32 v[116:117], v[64:65], v[16:17]
	;; [unrolled: 1-line block ×7, first 2 shown]
	v_add_f64_e64 v[146:147], v[66:67], -v[78:79]
	v_add_f64_e64 v[152:153], v[18:19], -v[70:71]
	v_add_f64_e32 v[124:125], v[62:63], v[124:125]
	v_fma_f64 v[106:107], v[106:107], -0.5, v[32:33]
	v_fma_f64 v[32:33], v[108:109], -0.5, v[32:33]
	v_add_f64_e64 v[62:63], v[62:63], -v[74:75]
	v_add_f64_e32 v[122:123], v[60:61], v[122:123]
	v_fma_f64 v[108:109], v[110:111], -0.5, v[34:35]
	v_fma_f64 v[34:35], v[112:113], -0.5, v[34:35]
	v_add_f64_e64 v[60:61], v[60:61], -v[72:73]
	v_add_f64_e32 v[134:135], v[148:149], v[134:135]
	v_add_f64_e32 v[136:137], v[150:151], v[136:137]
	;; [unrolled: 1-line block ×3, first 2 shown]
	v_add_f64_e64 v[166:167], v[36:37], -v[56:57]
	v_add_f64_e64 v[168:169], v[56:57], -v[36:37]
	;; [unrolled: 1-line block ×3, first 2 shown]
	v_add_f64_e32 v[120:121], v[66:67], v[18:19]
	v_add_f64_e64 v[110:111], v[20:21], -v[72:73]
	v_add_f64_e64 v[100:101], v[66:67], -v[18:19]
	v_add_f64_e32 v[102:103], v[76:77], v[102:103]
	v_add_f64_e32 v[104:105], v[78:79], v[104:105]
	v_add_f64_e64 v[76:77], v[76:77], -v[68:69]
	v_add_f64_e32 v[132:133], v[2:3], v[42:43]
	v_add_f64_e64 v[66:67], v[78:79], -v[66:67]
	v_fma_f64 v[138:139], v[138:139], -0.5, v[44:45]
	v_fma_f64 v[44:45], v[140:141], -0.5, v[44:45]
	;; [unrolled: 1-line block ×3, first 2 shown]
	v_add_f64_e64 v[142:143], v[22:23], -v[74:75]
	v_add_f64_e64 v[78:79], v[78:79], -v[70:71]
	;; [unrolled: 1-line block ×4, first 2 shown]
	v_fma_f64 v[114:115], v[114:115], -0.5, v[24:25]
	v_fma_f64 v[24:25], v[116:117], -0.5, v[24:25]
	;; [unrolled: 1-line block ×3, first 2 shown]
	v_add_f64_e32 v[118:119], v[28:29], v[40:41]
	v_fma_f64 v[126:127], v[126:127], -0.5, v[28:29]
	v_fma_f64 v[28:29], v[128:129], -0.5, v[28:29]
	;; [unrolled: 1-line block ×3, first 2 shown]
	v_add_f64_e32 v[130:131], v[38:39], v[46:47]
	v_fma_f64 v[46:47], v[144:145], -0.5, v[46:47]
	v_add_f64_e64 v[144:145], v[74:75], -v[22:23]
	v_fma_f64 v[148:149], v[50:51], s[12:13], v[106:107]
	v_fma_f64 v[106:107], v[50:51], s[0:1], v[106:107]
	;; [unrolled: 1-line block ×4, first 2 shown]
	v_add_f64_e32 v[146:147], v[152:153], v[146:147]
	v_add_f64_e64 v[38:39], v[58:59], -v[38:39]
	s_mov_b32 s14, 0x372fe950
	s_mov_b32 s15, 0x3fd3c6ef
	v_add_f64_e64 v[64:65], v[64:65], -v[16:17]
	v_add_f64_e32 v[112:113], v[56:57], v[112:113]
	v_add_f64_e64 v[56:57], v[56:57], -v[12:13]
	v_add_f64_e32 v[74:75], v[74:75], v[124:125]
	v_add_f64_e64 v[124:125], v[42:43], -v[2:3]
	v_fma_f64 v[26:27], v[120:121], -0.5, v[26:27]
	v_add_f64_e32 v[120:121], v[30:31], v[42:43]
	v_add_f64_e32 v[110:111], v[110:111], v[154:155]
	;; [unrolled: 1-line block ×4, first 2 shown]
	v_add_f64_e64 v[104:105], v[40:41], -v[52:53]
	v_add_f64_e64 v[70:71], v[70:71], -v[18:19]
	v_fma_f64 v[30:31], v[132:133], -0.5, v[30:31]
	v_add_f64_e64 v[132:133], v[72:73], -v[20:21]
	v_add_f64_e32 v[72:73], v[72:73], v[122:123]
	v_fma_f64 v[152:153], v[36:37], s[0:1], v[140:141]
	v_fma_f64 v[140:141], v[36:37], s[12:13], v[140:141]
	v_add_f64_e32 v[142:143], v[142:143], v[158:159]
	v_add_f64_e64 v[122:123], v[52:53], -v[40:41]
	v_add_f64_e64 v[162:163], v[42:43], -v[54:55]
	;; [unrolled: 1-line block ×4, first 2 shown]
	s_mov_b32 s16, 0x9b97f4a8
	v_add_f64_e32 v[118:119], v[52:53], v[118:119]
	v_add_f64_e64 v[52:53], v[52:53], -v[8:9]
	s_mov_b32 s17, 0x3fe9e377
	s_mov_b32 s19, 0xbfd3c6ef
	v_add_f64_e32 v[130:131], v[58:59], v[130:131]
	v_add_f64_e64 v[58:59], v[58:59], -v[14:15]
	v_add_f64_e32 v[144:145], v[144:145], v[160:161]
	v_fma_f64 v[148:149], v[62:63], s[10:11], v[148:149]
	s_wait_alu 0xfffe
	v_fma_f64 v[62:63], v[62:63], s[4:5], v[106:107]
	v_fma_f64 v[106:107], v[50:51], s[10:11], v[150:151]
	;; [unrolled: 1-line block ×7, first 2 shown]
	s_mov_b32 s18, s14
	s_mov_b32 s21, 0xbfe9e377
	v_fma_f64 v[154:155], v[56:57], s[12:13], v[46:47]
	v_fma_f64 v[46:47], v[56:57], s[0:1], v[46:47]
	;; [unrolled: 1-line block ×4, first 2 shown]
	v_add_f64_e32 v[120:121], v[54:55], v[120:121]
	v_add_f64_e64 v[54:55], v[54:55], -v[10:11]
	v_fma_f64 v[160:161], v[76:77], s[12:13], v[26:27]
	v_fma_f64 v[26:27], v[76:77], s[0:1], v[26:27]
	v_add_f64_e32 v[16:17], v[16:17], v[68:69]
	v_add_f64_e32 v[66:67], v[70:71], v[66:67]
	v_add_f64_e64 v[70:71], v[6:7], -v[14:15]
	v_add_f64_e32 v[132:133], v[132:133], v[156:157]
	v_fma_f64 v[156:157], v[100:101], s[12:13], v[114:115]
	v_fma_f64 v[152:153], v[56:57], s[4:5], v[152:153]
	;; [unrolled: 1-line block ×6, first 2 shown]
	v_add_f64_e32 v[20:21], v[20:21], v[72:73]
	s_mov_b32 s20, s16
	v_add_f64_e32 v[102:103], v[18:19], v[102:103]
	v_add_f64_e32 v[74:75], v[22:23], v[74:75]
	;; [unrolled: 1-line block ×3, first 2 shown]
	v_fma_f64 v[62:63], v[110:111], s[14:15], v[62:63]
	v_fma_f64 v[50:51], v[60:61], s[4:5], v[50:51]
	;; [unrolled: 1-line block ×5, first 2 shown]
	v_add_f64_e64 v[48:49], v[0:1], -v[8:9]
	v_add_f64_e64 v[150:151], v[4:5], -v[12:13]
	v_fma_f64 v[154:155], v[36:37], s[4:5], v[154:155]
	v_fma_f64 v[36:37], v[36:37], s[10:11], v[46:47]
	;; [unrolled: 1-line block ×4, first 2 shown]
	v_add_f64_e32 v[120:121], v[10:11], v[120:121]
	v_fma_f64 v[68:69], v[64:65], s[4:5], v[160:161]
	v_fma_f64 v[26:27], v[64:65], s[10:11], v[26:27]
	v_add_f64_e32 v[70:71], v[70:71], v[170:171]
	v_fma_f64 v[106:107], v[132:133], s[14:15], v[106:107]
	v_fma_f64 v[32:33], v[132:133], s[14:15], v[32:33]
	;; [unrolled: 1-line block ×8, first 2 shown]
	v_add_f64_e64 v[142:143], v[8:9], -v[0:1]
	v_fma_f64 v[108:109], v[144:145], s[14:15], v[108:109]
	v_add_f64_e32 v[48:49], v[48:49], v[104:105]
	v_add_f64_e64 v[104:105], v[14:15], -v[6:7]
	v_add_f64_e32 v[150:151], v[150:151], v[166:167]
	v_fma_f64 v[34:35], v[144:145], s[14:15], v[34:35]
	v_fma_f64 v[46:47], v[164:165], s[10:11], v[46:47]
	;; [unrolled: 1-line block ×3, first 2 shown]
	v_add_f64_e32 v[8:9], v[8:9], v[118:119]
	v_add_f64_e64 v[144:145], v[2:3], -v[10:11]
	v_add_f64_e64 v[14:15], v[16:17], -v[20:21]
	v_fma_f64 v[68:69], v[66:67], s[14:15], v[68:69]
	v_fma_f64 v[152:153], v[70:71], s[14:15], v[152:153]
	;; [unrolled: 1-line block ×3, first 2 shown]
	v_add_f64_e64 v[70:71], v[10:11], -v[2:3]
	v_fma_f64 v[24:25], v[100:101], s[4:5], v[24:25]
	v_mul_f64_e32 v[118:119], s[10:11], v[50:51]
	v_mul_f64_e32 v[50:51], s[16:17], v[50:51]
	v_add_f64_e32 v[122:123], v[142:143], v[122:123]
	v_fma_f64 v[142:143], v[64:65], s[0:1], v[116:117]
	v_fma_f64 v[116:117], v[64:65], s[12:13], v[116:117]
	v_add_f64_e32 v[38:39], v[104:105], v[38:39]
	v_add_f64_e64 v[104:105], v[12:13], -v[4:5]
	v_add_f64_e32 v[12:13], v[12:13], v[112:113]
	v_fma_f64 v[112:113], v[78:79], s[10:11], v[156:157]
	v_fma_f64 v[78:79], v[78:79], s[4:5], v[114:115]
	;; [unrolled: 1-line block ×4, first 2 shown]
	v_mul_f64_e32 v[148:149], s[12:13], v[108:109]
	v_fma_f64 v[138:139], v[54:55], s[10:11], v[158:159]
	v_mul_f64_e32 v[132:133], s[12:13], v[34:35]
	v_mul_f64_e32 v[110:111], s[10:11], v[60:61]
	;; [unrolled: 1-line block ×4, first 2 shown]
	v_add_f64_e32 v[70:71], v[70:71], v[42:43]
	v_fma_f64 v[42:43], v[52:53], s[12:13], v[30:31]
	v_fma_f64 v[30:31], v[52:53], s[0:1], v[30:31]
	v_add_f64_e32 v[0:1], v[0:1], v[8:9]
	s_wait_alu 0xfffe
	v_mul_f64_e32 v[60:61], s[20:21], v[60:61]
	v_add_f64_e32 v[144:145], v[144:145], v[162:163]
	v_add_f64_e32 v[8:9], v[20:21], v[16:17]
	v_fma_f64 v[142:143], v[76:77], s[4:5], v[142:143]
	v_fma_f64 v[76:77], v[76:77], s[10:11], v[116:117]
	;; [unrolled: 1-line block ×6, first 2 shown]
	v_add_f64_e32 v[104:105], v[104:105], v[168:169]
	v_fma_f64 v[116:117], v[40:41], s[0:1], v[128:129]
	v_fma_f64 v[54:55], v[54:55], s[4:5], v[126:127]
	v_mul_f64_e32 v[126:127], s[10:11], v[152:153]
	v_fma_f64 v[72:73], v[134:135], s[14:15], v[112:113]
	v_fma_f64 v[112:113], v[100:101], s[16:17], v[118:119]
	;; [unrolled: 1-line block ×5, first 2 shown]
	v_add_f64_e32 v[4:5], v[4:5], v[12:13]
	v_fma_f64 v[118:119], v[136:137], s[14:15], v[24:25]
	v_fma_f64 v[132:133], v[32:33], s[18:19], v[132:133]
	;; [unrolled: 1-line block ×14, first 2 shown]
	v_mul_f64_e32 v[160:161], s[18:19], v[36:37]
	v_fma_f64 v[38:39], v[124:125], s[10:11], v[38:39]
	v_fma_f64 v[28:29], v[124:125], s[4:5], v[28:29]
	;; [unrolled: 1-line block ×5, first 2 shown]
	v_mul_f64_e32 v[58:59], s[10:11], v[56:57]
	v_fma_f64 v[104:105], v[104:105], s[14:15], v[44:45]
	v_mul_f64_e32 v[44:45], s[12:13], v[154:155]
	v_mul_f64_e32 v[140:141], s[12:13], v[36:37]
	v_fma_f64 v[116:117], v[52:53], s[4:5], v[116:117]
	v_fma_f64 v[54:55], v[48:49], s[14:15], v[54:55]
	v_add_f64_e32 v[10:11], v[72:73], v[112:113]
	v_add_f64_e64 v[19:20], v[72:73], -v[112:113]
	v_add_f64_e64 v[21:22], v[114:115], -v[106:107]
	v_add_f64_e32 v[23:24], v[114:115], v[106:107]
	v_fma_f64 v[72:73], v[52:53], s[10:11], v[128:129]
	v_mul_f64_e32 v[106:107], s[20:21], v[56:57]
	v_add_f64_e32 v[31:32], v[0:1], v[4:5]
	v_add_f64_e32 v[25:26], v[118:119], v[132:133]
	;; [unrolled: 1-line block ×3, first 2 shown]
	v_add_f64_e64 v[61:62], v[68:69], -v[64:65]
	v_add_f64_e32 v[63:64], v[68:69], v[64:65]
	v_add_f64_e32 v[51:52], v[74:75], v[102:103]
	v_mul_i32_i24_e32 v68, 10, v95
	v_add_f64_e32 v[65:66], v[108:109], v[146:147]
	v_fma_f64 v[136:137], v[122:123], s[14:15], v[38:39]
	v_fma_f64 v[122:123], v[122:123], s[14:15], v[28:29]
	v_mul_f64_e32 v[16:17], s[4:5], v[124:125]
	v_fma_f64 v[126:127], v[124:125], s[16:17], v[126:127]
	v_mul_f64_e32 v[124:125], s[0:1], v[46:47]
	v_fma_f64 v[58:59], v[150:151], s[20:21], v[58:59]
	v_add_f64_e64 v[37:38], v[0:1], -v[4:5]
	v_fma_f64 v[138:139], v[46:47], s[14:15], v[44:45]
	v_fma_f64 v[140:141], v[104:105], s[18:19], v[140:141]
	v_mul_u32_u24_e32 v4, 0x140, v81
	v_add_f64_e32 v[0:1], v[2:3], v[120:121]
	v_add_f64_e32 v[2:3], v[6:7], v[130:131]
	v_add_f64_e64 v[29:30], v[78:79], -v[110:111]
	v_add_f64_e64 v[27:28], v[118:119], -v[132:133]
	v_lshlrev_b32_e32 v18, 3, v4
	v_mul_u32_u24_e32 v4, 10, v80
	s_delay_alu instid0(VALU_DEP_2) | instskip(NEXT) | instid1(VALU_DEP_1)
	v_add_nc_u32_e32 v67, 0, v18
	v_lshl_add_u32 v81, v4, 3, v67
	v_fma_f64 v[4:5], v[144:145], s[14:15], v[116:117]
	v_lshl_add_u32 v120, v92, 3, v67
	v_lshl_add_u32 v121, v97, 3, v67
	v_fma_f64 v[6:7], v[152:153], s[16:17], v[16:17]
	v_fma_f64 v[16:17], v[70:71], s[14:15], v[148:149]
	;; [unrolled: 1-line block ×3, first 2 shown]
	v_add_f64_e32 v[35:36], v[54:55], v[58:59]
	v_add_f64_e64 v[49:50], v[54:55], -v[58:59]
	v_add_f64_e32 v[53:54], v[142:143], v[100:101]
	v_add_f64_e64 v[59:60], v[142:143], -v[100:101]
	v_fma_f64 v[69:70], v[70:71], s[14:15], v[156:157]
	v_fma_f64 v[100:101], v[104:105], s[0:1], v[160:161]
	v_add_f64_e32 v[33:34], v[134:135], v[126:127]
	v_add_f64_e32 v[43:44], v[136:137], v[138:139]
	;; [unrolled: 1-line block ×3, first 2 shown]
	v_add_f64_e64 v[57:58], v[102:103], -v[74:75]
	v_fma_f64 v[102:103], v[144:145], s[14:15], v[72:73]
	v_fma_f64 v[104:105], v[150:151], s[4:5], v[106:107]
	v_add_f64_e64 v[39:40], v[134:135], -v[126:127]
	v_add_f64_e64 v[41:42], v[136:137], -v[138:139]
	;; [unrolled: 1-line block ×3, first 2 shown]
	v_add_f64_e32 v[55:56], v[76:77], v[158:159]
	v_add_f64_e64 v[74:75], v[108:109], -v[146:147]
	v_add_f64_e64 v[76:77], v[76:77], -v[158:159]
	v_lshl_add_u32 v71, v68, 3, v67
	ds_store_b128 v81, v[8:11]
	ds_store_b128 v81, v[23:26] offset:16
	ds_store_b128 v81, v[12:15] offset:32
	;; [unrolled: 1-line block ×4, first 2 shown]
	ds_store_b128 v71, v[31:34]
	ds_store_b128 v71, v[43:46] offset:16
	v_add_f64_e32 v[22:23], v[0:1], v[2:3]
	v_add_f64_e32 v[24:25], v[4:5], v[6:7]
	;; [unrolled: 1-line block ×4, first 2 shown]
	v_and_b32_e32 v19, 0xff, v95
	ds_store_b128 v71, v[35:38] offset:32
	ds_store_b128 v71, v[39:42] offset:48
	;; [unrolled: 1-line block ×3, first 2 shown]
	v_add_f64_e64 v[36:37], v[0:1], -v[2:3]
	v_add_f64_e32 v[34:35], v[102:103], v[104:105]
	v_add_f64_e64 v[26:27], v[4:5], -v[6:7]
	v_add_f64_e64 v[28:29], v[16:17], -v[78:79]
	;; [unrolled: 1-line block ×4, first 2 shown]
	v_mul_lo_u16 v19, 0xcd, v19
	v_and_b32_e32 v20, 0xff, v86
	v_lshlrev_b32_e32 v8, 3, v80
	v_lshl_add_u32 v72, v94, 3, v67
	v_lshl_add_u32 v73, v90, 3, v67
	v_lshrrev_b16 v19, 11, v19
	v_mul_lo_u16 v20, 0xcd, v20
	v_add3_u32 v123, 0, v8, v18
	v_add_nc_u32_e32 v119, v67, v8
	v_mad_i32_i24 v122, 0xffffffb8, v95, v71
	v_mul_lo_u16 v50, v19, 10
	v_lshrrev_b16 v21, 11, v20
	v_add_nc_u32_e32 v68, 0x800, v123
	v_lshl_add_u32 v124, v86, 3, v67
	s_load_b64 s[2:3], s[2:3], 0x0
	v_sub_nc_u16 v20, v95, v50
	v_lshl_add_u32 v125, v99, 3, v67
	v_lshl_add_u32 v126, v91, 3, v67
	;; [unrolled: 1-line block ×3, first 2 shown]
	global_wb scope:SCOPE_SE
	s_wait_dscnt 0x0
	v_and_b32_e32 v20, 0xff, v20
	s_wait_kmcnt 0x0
	s_barrier_signal -1
	s_barrier_wait -1
	global_inv scope:SCOPE_SE
	ds_load_b64 v[0:1], v119
	ds_load_b64 v[16:17], v120
	;; [unrolled: 1-line block ×10, first 2 shown]
	ds_load_2addr_b64 v[42:45], v123 offset0:160 offset1:176
	ds_load_2addr_b64 v[46:49], v123 offset0:224 offset1:240
	ds_load_2addr_b64 v[100:103], v68 offset1:16
	ds_load_2addr_b64 v[104:107], v123 offset0:192 offset1:208
	ds_load_2addr_b64 v[108:111], v68 offset0:32 offset1:48
	global_wb scope:SCOPE_SE
	s_wait_dscnt 0x0
	s_barrier_signal -1
	s_barrier_wait -1
	global_inv scope:SCOPE_SE
	ds_store_b128 v81, v[51:54]
	ds_store_b128 v81, v[63:66] offset:16
	ds_store_b128 v81, v[55:58] offset:32
	;; [unrolled: 1-line block ×4, first 2 shown]
	ds_store_b128 v71, v[22:25]
	ds_store_b128 v71, v[30:33] offset:16
	v_mov_b32_e32 v77, 0
	v_mul_u32_u24_e32 v24, 3, v20
	v_mul_lo_u16 v50, v21, 10
	v_and_b32_e32 v23, 0xff, v91
	ds_store_b128 v71, v[34:37] offset:32
	ds_store_b128 v71, v[26:29] offset:48
	;; [unrolled: 1-line block ×3, first 2 shown]
	global_wb scope:SCOPE_SE
	s_wait_dscnt 0x0
	v_lshlrev_b32_e32 v66, 4, v24
	v_sub_nc_u16 v22, v86, v50
	s_barrier_signal -1
	s_barrier_wait -1
	global_inv scope:SCOPE_SE
	global_load_b128 v[28:31], v66, s[8:9] offset:32
	v_and_b32_e32 v22, 0xff, v22
	v_mul_lo_u16 v23, 0xcd, v23
	v_and_b32_e32 v25, 0xff, v94
	v_cmp_gt_u32_e64 s0, 10, v80
	v_lshlrev_b32_e32 v20, 3, v20
	v_mul_u32_u24_e32 v24, 3, v22
	v_lshrrev_b16 v23, 11, v23
	v_mul_lo_u16 v25, 0xcd, v25
	v_lshlrev_b32_e32 v22, 3, v22
	s_delay_alu instid0(VALU_DEP_4) | instskip(NEXT) | instid1(VALU_DEP_4)
	v_lshlrev_b32_e32 v67, 4, v24
	v_mul_lo_u16 v24, v23, 10
	s_delay_alu instid0(VALU_DEP_4) | instskip(SKIP_3) | instid1(VALU_DEP_2)
	v_lshrrev_b16 v25, 11, v25
	global_load_b128 v[32:35], v67, s[8:9] offset:32
	v_sub_nc_u16 v24, v91, v24
	v_mul_lo_u16 v27, v25, 10
	v_and_b32_e32 v24, 0xff, v24
	s_delay_alu instid0(VALU_DEP_1) | instskip(SKIP_1) | instid1(VALU_DEP_2)
	v_mul_u32_u24_e32 v26, 3, v24
	v_lshlrev_b32_e32 v24, 3, v24
	v_lshlrev_b32_e32 v71, 4, v26
	v_sub_nc_u16 v26, v94, v27
	v_add_nc_u32_e32 v27, -10, v80
	global_load_b128 v[36:39], v71, s[8:9] offset:32
	v_and_b32_e32 v26, 0xff, v26
	s_wait_alu 0xf1ff
	v_cndmask_b32_e64 v27, v27, v80, s0
	s_delay_alu instid0(VALU_DEP_2) | instskip(NEXT) | instid1(VALU_DEP_2)
	v_mul_u32_u24_e32 v40, 3, v26
	v_mul_i32_i24_e32 v76, 3, v27
	s_delay_alu instid0(VALU_DEP_2) | instskip(NEXT) | instid1(VALU_DEP_2)
	v_lshlrev_b32_e32 v74, 4, v40
	v_lshlrev_b64_e32 v[40:41], 4, v[76:77]
	v_add_nc_u32_e32 v76, -8, v80
	global_load_b128 v[50:53], v74, s[8:9] offset:32
	v_add_co_u32 v40, s0, s8, v40
	s_wait_alu 0xf1ff
	v_add_co_ci_u32_e64 v41, s0, s9, v41, s0
	s_clause 0xa
	global_load_b128 v[54:57], v[40:41], off
	global_load_b128 v[58:61], v66, s[8:9]
	global_load_b128 v[62:65], v67, s[8:9]
	global_load_b128 v[112:115], v[40:41], off offset:16
	global_load_b128 v[128:131], v[40:41], off offset:32
	global_load_b128 v[132:135], v66, s[8:9] offset:16
	global_load_b128 v[136:139], v67, s[8:9] offset:16
	;; [unrolled: 1-line block ×4, first 2 shown]
	global_load_b128 v[148:151], v71, s[8:9]
	global_load_b128 v[152:155], v74, s[8:9]
	ds_load_2addr_b64 v[156:159], v68 offset1:16
	ds_load_2addr_b64 v[160:163], v68 offset0:32 offset1:48
	v_cmp_lt_u32_e64 s0, 9, v80
	s_wait_alu 0xf1ff
	s_delay_alu instid0(VALU_DEP_1) | instskip(SKIP_1) | instid1(VALU_DEP_2)
	v_cndmask_b32_e64 v71, 0, 0x140, s0
	v_cmp_gt_u32_e64 s0, 40, v86
	v_add_nc_u32_e32 v71, 0, v71
	s_wait_loadcnt_dscnt 0xe01
	v_mul_f64_e32 v[40:41], v[156:157], v[30:31]
	v_mul_f64_e32 v[30:31], v[100:101], v[30:31]
	s_wait_loadcnt 0xd
	v_mul_f64_e32 v[66:67], v[158:159], v[34:35]
	v_mul_f64_e32 v[34:35], v[102:103], v[34:35]
	s_wait_loadcnt_dscnt 0xc00
	v_mul_f64_e32 v[74:75], v[160:161], v[38:39]
	v_fma_f64 v[40:41], v[100:101], v[28:29], v[40:41]
	ds_load_b64 v[100:101], v120
	v_mul_f64_e32 v[38:39], v[108:109], v[38:39]
	v_fma_f64 v[78:79], v[156:157], v[28:29], -v[30:31]
	s_wait_loadcnt 0xb
	v_mul_f64_e32 v[28:29], v[162:163], v[52:53]
	v_mul_f64_e32 v[30:31], v[110:111], v[52:53]
	ds_load_b64 v[52:53], v121
	v_fma_f64 v[66:67], v[102:103], v[32:33], v[66:67]
	v_fma_f64 v[102:103], v[158:159], v[32:33], -v[34:35]
	s_wait_loadcnt 0xa
	v_mul_f64_e32 v[34:35], v[16:17], v[56:57]
	s_wait_dscnt 0x1
	v_mul_f64_e32 v[32:33], v[100:101], v[56:57]
	ds_load_b64 v[116:117], v122
	ds_load_b64 v[156:157], v119
	v_fma_f64 v[56:57], v[108:109], v[36:37], v[74:75]
	s_wait_loadcnt_dscnt 0x902
	v_mul_f64_e32 v[74:75], v[52:53], v[60:61]
	v_mul_f64_e32 v[60:61], v[14:15], v[60:61]
	v_fma_f64 v[36:37], v[160:161], v[36:37], -v[38:39]
	ds_load_b64 v[38:39], v125
	v_fma_f64 v[108:109], v[110:111], v[50:51], v[28:29]
	v_fma_f64 v[50:51], v[162:163], v[50:51], -v[30:31]
	ds_load_2addr_b64 v[28:31], v123 offset0:160 offset1:176
	ds_load_b64 v[110:111], v126
	ds_load_b64 v[158:159], v124
	v_fma_f64 v[162:163], v[16:17], v[54:55], v[32:33]
	v_fma_f64 v[54:55], v[100:101], v[54:55], -v[34:35]
	ds_load_2addr_b64 v[32:35], v123 offset0:224 offset1:240
	s_wait_loadcnt_dscnt 0x804
	v_mul_f64_e32 v[160:161], v[38:39], v[64:65]
	v_mul_f64_e32 v[64:65], v[12:13], v[64:65]
	s_wait_loadcnt_dscnt 0x703
	v_mul_f64_e32 v[100:101], v[28:29], v[114:115]
	v_mul_f64_e32 v[114:115], v[42:43], v[114:115]
	v_fma_f64 v[74:75], v[14:15], v[58:59], v[74:75]
	ds_load_2addr_b64 v[14:17], v123 offset0:192 offset1:208
	v_fma_f64 v[52:53], v[52:53], v[58:59], -v[60:61]
	s_wait_loadcnt 0x6
	v_mul_f64_e32 v[60:61], v[48:49], v[130:131]
	s_wait_dscnt 0x1
	v_mul_f64_e32 v[58:59], v[34:35], v[130:131]
	s_wait_loadcnt_dscnt 0x300
	v_mul_f64_e32 v[130:131], v[16:17], v[142:143]
	v_fma_f64 v[12:13], v[12:13], v[62:63], v[160:161]
	v_fma_f64 v[38:39], v[38:39], v[62:63], -v[64:65]
	v_mul_f64_e32 v[64:65], v[14:15], v[138:139]
	v_mul_f64_e32 v[62:63], v[30:31], v[134:135]
	v_fma_f64 v[42:43], v[42:43], v[112:113], v[100:101]
	v_fma_f64 v[28:29], v[28:29], v[112:113], -v[114:115]
	ds_load_b64 v[112:113], v127
	s_wait_loadcnt 0x2
	v_mul_f64_e32 v[100:101], v[32:33], v[146:147]
	v_mul_f64_e32 v[114:115], v[104:105], v[138:139]
	v_add_f64_e64 v[40:41], v[74:75], -v[40:41]
	v_fma_f64 v[34:35], v[34:35], v[128:129], -v[60:61]
	v_add_f64_e64 v[78:79], v[52:53], -v[78:79]
	v_fma_f64 v[48:49], v[48:49], v[128:129], v[58:59]
	ds_load_b64 v[58:59], v73
	ds_load_b64 v[60:61], v72
	global_wb scope:SCOPE_SE
	s_wait_loadcnt_dscnt 0x0
	s_barrier_signal -1
	s_barrier_wait -1
	global_inv scope:SCOPE_SE
	v_mul_f64_e32 v[128:129], v[112:113], v[150:151]
	v_fma_f64 v[64:65], v[104:105], v[136:137], v[64:65]
	v_fma_f64 v[104:105], v[106:107], v[140:141], v[130:131]
	v_mul_f64_e32 v[130:131], v[58:59], v[154:155]
	v_fma_f64 v[62:63], v[44:45], v[132:133], v[62:63]
	v_mul_f64_e32 v[44:45], v[44:45], v[134:135]
	v_mul_f64_e32 v[106:107], v[106:107], v[142:143]
	v_add_f64_e64 v[42:43], v[0:1], -v[42:43]
	v_add_f64_e64 v[28:29], v[156:157], -v[28:29]
	v_fma_f64 v[100:101], v[46:47], v[144:145], v[100:101]
	v_mul_f64_e32 v[46:47], v[46:47], v[146:147]
	v_fma_f64 v[14:15], v[14:15], v[136:137], -v[114:115]
	v_add_f64_e64 v[34:35], v[54:55], -v[34:35]
	v_fma_f64 v[74:75], v[74:75], 2.0, -v[40:41]
	v_fma_f64 v[52:53], v[52:53], 2.0, -v[78:79]
	v_fma_f64 v[128:129], v[10:11], v[148:149], v[128:129]
	v_mul_f64_e32 v[10:11], v[10:11], v[150:151]
	v_fma_f64 v[130:131], v[69:70], v[152:153], v[130:131]
	v_mul_f64_e32 v[69:70], v[69:70], v[154:155]
	v_fma_f64 v[30:31], v[30:31], v[132:133], -v[44:45]
	v_fma_f64 v[16:17], v[16:17], v[140:141], -v[106:107]
	v_add_f64_e64 v[44:45], v[162:163], -v[48:49]
	v_add_f64_e64 v[48:49], v[4:5], -v[64:65]
	;; [unrolled: 1-line block ×3, first 2 shown]
	v_fma_f64 v[0:1], v[0:1], 2.0, -v[42:43]
	v_fma_f64 v[114:115], v[156:157], 2.0, -v[28:29]
	v_fma_f64 v[32:33], v[32:33], v[144:145], -v[46:47]
	v_add_f64_e64 v[46:47], v[2:3], -v[62:63]
	v_add_f64_e64 v[62:63], v[12:13], -v[66:67]
	;; [unrolled: 1-line block ×6, first 2 shown]
	v_fma_f64 v[10:11], v[112:113], v[148:149], -v[10:11]
	v_fma_f64 v[58:59], v[58:59], v[152:153], -v[69:70]
	v_add_f64_e64 v[30:31], v[116:117], -v[30:31]
	v_add_f64_e64 v[16:17], v[110:111], -v[16:17]
	;; [unrolled: 1-line block ×3, first 2 shown]
	v_fma_f64 v[102:103], v[162:163], 2.0, -v[44:45]
	v_add_f64_e32 v[108:109], v[42:43], v[34:35]
	v_fma_f64 v[34:35], v[54:55], 2.0, -v[34:35]
	v_fma_f64 v[4:5], v[4:5], 2.0, -v[48:49]
	;; [unrolled: 1-line block ×3, first 2 shown]
	v_add_f64_e64 v[44:45], v[28:29], -v[44:45]
	v_add_f64_e64 v[32:33], v[60:61], -v[32:33]
	v_fma_f64 v[2:3], v[2:3], 2.0, -v[46:47]
	v_add_f64_e32 v[112:113], v[46:47], v[78:79]
	v_fma_f64 v[12:13], v[12:13], 2.0, -v[62:63]
	v_add_f64_e32 v[54:55], v[48:49], v[100:101]
	v_fma_f64 v[38:39], v[38:39], 2.0, -v[100:101]
	v_fma_f64 v[8:9], v[8:9], 2.0, -v[66:67]
	v_add_f64_e64 v[62:63], v[14:15], -v[62:63]
	v_fma_f64 v[104:105], v[128:129], 2.0, -v[56:57]
	v_add_f64_e64 v[36:37], v[10:11], -v[36:37]
	v_add_f64_e64 v[50:51], v[58:59], -v[50:51]
	v_fma_f64 v[78:79], v[116:117], 2.0, -v[30:31]
	v_fma_f64 v[116:117], v[158:159], 2.0, -v[14:15]
	;; [unrolled: 1-line block ×4, first 2 shown]
	v_add_f64_e64 v[102:103], v[0:1], -v[102:103]
	v_add_f64_e64 v[132:133], v[114:115], -v[34:35]
	;; [unrolled: 1-line block ×4, first 2 shown]
	v_fma_f64 v[42:43], v[42:43], 2.0, -v[108:109]
	v_fma_f64 v[60:61], v[60:61], 2.0, -v[32:33]
	v_add_f64_e64 v[74:75], v[2:3], -v[74:75]
	v_add_f64_e64 v[69:70], v[32:33], -v[69:70]
	v_fma_f64 v[46:47], v[46:47], 2.0, -v[112:113]
	v_fma_f64 v[34:35], v[48:49], 2.0, -v[54:55]
	v_fma_f64 v[136:137], v[14:15], 2.0, -v[62:63]
	v_add_f64_e64 v[104:105], v[6:7], -v[104:105]
	v_fma_f64 v[100:101], v[10:11], 2.0, -v[36:37]
	v_add_f64_e64 v[11:12], v[4:5], -v[12:13]
	v_add_f64_e32 v[36:37], v[64:65], v[36:37]
	s_wait_alu 0xf1ff
	v_cndmask_b32_e64 v10, v76, v86, s0
	v_mul_i32_i24_e32 v76, 3, v95
	v_lshlrev_b32_e32 v13, 3, v27
	v_fma_f64 v[58:59], v[58:59], 2.0, -v[50:51]
	v_add_f64_e64 v[48:49], v[78:79], -v[52:53]
	v_add_f64_e64 v[38:39], v[116:117], -v[38:39]
	v_add_f64_e32 v[50:51], v[66:67], v[50:51]
	v_add_f64_e64 v[106:107], v[8:9], -v[106:107]
	v_lshlrev_b64_e32 v[128:129], 4, v[76:77]
	v_mul_i32_i24_e32 v76, 3, v10
	v_add3_u32 v71, v71, v13, v18
	v_fma_f64 v[0:1], v[0:1], 2.0, -v[102:103]
	v_fma_f64 v[114:115], v[114:115], 2.0, -v[132:133]
	;; [unrolled: 1-line block ×3, first 2 shown]
	v_lshlrev_b64_e32 v[130:131], 4, v[76:77]
	v_fma_f64 v[2:3], v[2:3], 2.0, -v[74:75]
	ds_store_2addr_b64 v71, v[102:103], v[108:109] offset0:20 offset1:30
	v_fma_f64 v[15:16], v[16:17], 2.0, -v[56:57]
	v_fma_f64 v[138:139], v[32:33], 2.0, -v[69:70]
	v_and_b32_e32 v13, 0xffff, v19
	v_and_b32_e32 v19, 0xffff, v21
	;; [unrolled: 1-line block ×4, first 2 shown]
	v_lshlrev_b32_e32 v25, 3, v26
	v_mad_u32_u24 v13, 0x140, v13, 0
	v_mad_u32_u24 v19, 0x140, v19, 0
	;; [unrolled: 1-line block ×4, first 2 shown]
	v_lshlrev_b32_e32 v10, 3, v10
	v_add3_u32 v76, v13, v20, v18
	v_add3_u32 v81, v19, v22, v18
	v_fma_f64 v[6:7], v[6:7], 2.0, -v[104:105]
	v_add_f64_e64 v[52:53], v[110:111], -v[100:101]
	v_add_co_u32 v100, s0, s8, v128
	s_wait_alu 0xf1ff
	v_add_co_ci_u32_e64 v101, s0, s9, v129, s0
	v_add_co_u32 v128, s0, s8, v130
	s_wait_alu 0xf1ff
	v_add_co_ci_u32_e64 v129, s0, s9, v131, s0
	v_add_f64_e64 v[58:59], v[60:61], -v[58:59]
	v_fma_f64 v[130:131], v[28:29], 2.0, -v[44:45]
	v_fma_f64 v[78:79], v[78:79], 2.0, -v[48:49]
	;; [unrolled: 1-line block ×7, first 2 shown]
	v_add3_u32 v87, v21, v24, v18
	v_add3_u32 v89, v23, v25, v18
	ds_store_2addr_b64 v71, v[0:1], v[42:43] offset1:10
	ds_store_2addr_b64 v76, v[2:3], v[46:47] offset1:10
	ds_store_2addr_b64 v76, v[74:75], v[112:113] offset0:20 offset1:30
	ds_store_2addr_b64 v81, v[4:5], v[34:35] offset1:10
	ds_store_2addr_b64 v81, v[11:12], v[54:55] offset0:20 offset1:30
	;; [unrolled: 2-line block ×4, first 2 shown]
	v_fma_f64 v[108:109], v[110:111], 2.0, -v[52:53]
	v_fma_f64 v[60:61], v[60:61], 2.0, -v[58:59]
	global_wb scope:SCOPE_SE
	s_wait_dscnt 0x0
	s_barrier_signal -1
	s_barrier_wait -1
	global_inv scope:SCOPE_SE
	ds_load_b64 v[0:1], v119
	ds_load_b64 v[74:75], v120
	;; [unrolled: 1-line block ×10, first 2 shown]
	ds_load_2addr_b64 v[11:14], v123 offset0:160 offset1:176
	ds_load_2addr_b64 v[19:22], v123 offset0:224 offset1:240
	ds_load_2addr_b64 v[23:26], v68 offset1:16
	ds_load_2addr_b64 v[27:30], v123 offset0:192 offset1:208
	ds_load_2addr_b64 v[31:34], v68 offset0:32 offset1:48
	global_wb scope:SCOPE_SE
	s_wait_dscnt 0x0
	s_barrier_signal -1
	s_barrier_wait -1
	global_inv scope:SCOPE_SE
	ds_store_2addr_b64 v71, v[114:115], v[130:131] offset1:10
	ds_store_2addr_b64 v71, v[132:133], v[44:45] offset0:20 offset1:30
	ds_store_2addr_b64 v76, v[78:79], v[134:135] offset1:10
	ds_store_2addr_b64 v76, v[48:49], v[40:41] offset0:20 offset1:30
	;; [unrolled: 2-line block ×5, first 2 shown]
	global_wb scope:SCOPE_SE
	s_wait_dscnt 0x0
	s_barrier_signal -1
	s_barrier_wait -1
	global_inv scope:SCOPE_SE
	s_clause 0x1
	global_load_b128 v[35:38], v[100:101], off offset:512
	global_load_b128 v[39:42], v[128:129], off offset:512
	v_mul_u32_u24_e32 v15, 3, v80
	v_cmp_lt_u32_e64 s0, 39, v86
	v_add_nc_u32_e32 v71, 0x400, v123
	s_delay_alu instid0(VALU_DEP_3)
	v_lshlrev_b32_e32 v15, 4, v15
	s_clause 0xc
	global_load_b128 v[43:46], v15, s[8:9] offset:896
	global_load_b128 v[47:50], v15, s[8:9] offset:1664
	;; [unrolled: 1-line block ×3, first 2 shown]
	global_load_b128 v[55:58], v[100:101], off offset:480
	global_load_b128 v[59:62], v15, s[8:9] offset:496
	global_load_b128 v[63:66], v15, s[8:9] offset:512
	global_load_b128 v[100:103], v[100:101], off offset:496
	global_load_b128 v[104:107], v[128:129], off offset:496
	global_load_b128 v[108:111], v15, s[8:9] offset:880
	global_load_b128 v[112:115], v15, s[8:9] offset:1648
	global_load_b128 v[128:131], v[128:129], off offset:480
	global_load_b128 v[132:135], v15, s[8:9] offset:864
	global_load_b128 v[136:139], v15, s[8:9] offset:1632
	ds_load_2addr_b64 v[140:143], v68 offset1:16
	ds_load_2addr_b64 v[144:147], v68 offset0:32 offset1:48
	ds_load_b64 v[154:155], v120
	ds_load_b64 v[158:159], v121
	;; [unrolled: 1-line block ×4, first 2 shown]
	s_wait_alu 0xf1ff
	v_cndmask_b32_e64 v17, 0, 0x500, s0
	s_delay_alu instid0(VALU_DEP_1) | instskip(NEXT) | instid1(VALU_DEP_1)
	v_add_nc_u32_e32 v17, 0, v17
	v_add3_u32 v67, v17, v10, v18
	s_wait_loadcnt_dscnt 0xc04
	v_mul_f64_e32 v[78:79], v[144:145], v[45:46]
	v_mul_f64_e32 v[15:16], v[140:141], v[37:38]
	;; [unrolled: 1-line block ×6, first 2 shown]
	s_wait_loadcnt 0xb
	v_mul_f64_e32 v[156:157], v[146:147], v[49:50]
	v_mul_f64_e32 v[49:50], v[33:34], v[49:50]
	s_wait_loadcnt_dscnt 0xa03
	v_mul_f64_e32 v[164:165], v[154:155], v[53:54]
	v_mul_f64_e32 v[53:54], v[74:75], v[53:54]
	v_fma_f64 v[15:16], v[23:24], v[35:36], v[15:16]
	v_fma_f64 v[140:141], v[140:141], v[35:36], -v[37:38]
	v_fma_f64 v[69:70], v[25:26], v[39:40], v[69:70]
	ds_load_2addr_b64 v[23:26], v123 offset0:160 offset1:176
	ds_load_2addr_b64 v[35:38], v123 offset0:224 offset1:240
	v_fma_f64 v[39:40], v[142:143], v[39:40], -v[41:42]
	v_fma_f64 v[41:42], v[31:32], v[43:44], v[78:79]
	v_fma_f64 v[43:44], v[144:145], v[43:44], -v[45:46]
	s_wait_loadcnt_dscnt 0x904
	v_mul_f64_e32 v[45:46], v[158:159], v[57:58]
	v_mul_f64_e32 v[57:58], v[116:117], v[57:58]
	v_fma_f64 v[78:79], v[33:34], v[47:48], v[156:157]
	v_fma_f64 v[47:48], v[146:147], v[47:48], -v[49:50]
	ds_load_2addr_b64 v[31:34], v123 offset0:192 offset1:208
	v_fma_f64 v[74:75], v[74:75], v[51:52], v[164:165]
	v_fma_f64 v[51:52], v[154:155], v[51:52], -v[53:54]
	ds_load_b64 v[154:155], v125
	s_wait_loadcnt_dscnt 0x803
	v_mul_f64_e32 v[49:50], v[23:24], v[61:62]
	v_mul_f64_e32 v[61:62], v[11:12], v[61:62]
	s_wait_loadcnt_dscnt 0x702
	v_mul_f64_e32 v[142:143], v[37:38], v[65:66]
	v_mul_f64_e32 v[65:66], v[21:22], v[65:66]
	s_wait_loadcnt 0x6
	v_mul_f64_e32 v[144:145], v[25:26], v[102:103]
	s_wait_loadcnt_dscnt 0x501
	v_mul_f64_e32 v[53:54], v[31:32], v[106:107]
	s_wait_loadcnt 0x4
	v_mul_f64_e32 v[146:147], v[33:34], v[110:111]
	v_fma_f64 v[45:46], v[116:117], v[55:56], v[45:46]
	ds_load_b64 v[116:117], v127
	v_fma_f64 v[55:56], v[158:159], v[55:56], -v[57:58]
	ds_load_b64 v[57:58], v73
	ds_load_b64 v[156:157], v126
	s_wait_loadcnt 0x3
	v_mul_f64_e32 v[158:159], v[35:36], v[114:115]
	v_fma_f64 v[11:12], v[11:12], v[59:60], v[49:50]
	v_fma_f64 v[23:24], v[23:24], v[59:60], -v[61:62]
	s_wait_loadcnt_dscnt 0x203
	v_mul_f64_e32 v[59:60], v[154:155], v[130:131]
	v_fma_f64 v[37:38], v[37:38], v[63:64], -v[65:66]
	v_fma_f64 v[65:66], v[13:14], v[100:101], v[144:145]
	v_mul_f64_e32 v[13:14], v[13:14], v[102:103]
	s_wait_loadcnt_dscnt 0x102
	v_mul_f64_e32 v[61:62], v[116:117], v[134:135]
	v_mul_f64_e32 v[102:103], v[27:28], v[106:107]
	s_wait_loadcnt_dscnt 0x1
	v_mul_f64_e32 v[106:107], v[57:58], v[138:139]
	v_fma_f64 v[27:28], v[27:28], v[104:105], v[53:54]
	v_fma_f64 v[53:54], v[29:30], v[108:109], v[146:147]
	v_mul_f64_e32 v[29:30], v[29:30], v[110:111]
	v_fma_f64 v[21:22], v[21:22], v[63:64], v[142:143]
	ds_load_b64 v[49:50], v124
	ds_load_b64 v[63:64], v72
	global_wb scope:SCOPE_SE
	s_wait_dscnt 0x0
	s_barrier_signal -1
	s_barrier_wait -1
	global_inv scope:SCOPE_SE
	v_add_f64_e64 v[15:16], v[45:46], -v[15:16]
	v_fma_f64 v[110:111], v[19:20], v[112:113], v[158:159]
	v_mul_f64_e32 v[19:20], v[19:20], v[114:115]
	v_mul_f64_e32 v[114:115], v[148:149], v[130:131]
	;; [unrolled: 1-line block ×4, first 2 shown]
	v_add_f64_e64 v[11:12], v[0:1], -v[11:12]
	v_add_f64_e64 v[23:24], v[162:163], -v[23:24]
	v_fma_f64 v[59:60], v[148:149], v[128:129], v[59:60]
	v_add_f64_e64 v[37:38], v[51:52], -v[37:38]
	v_fma_f64 v[13:14], v[25:26], v[100:101], -v[13:14]
	v_fma_f64 v[61:62], v[150:151], v[132:133], v[61:62]
	v_fma_f64 v[25:26], v[31:32], v[104:105], -v[102:103]
	v_fma_f64 v[106:107], v[152:153], v[136:137], v[106:107]
	v_add_f64_e64 v[31:32], v[2:3], -v[65:66]
	v_add_f64_e64 v[27:28], v[4:5], -v[27:28]
	v_fma_f64 v[29:30], v[33:34], v[108:109], -v[29:30]
	v_add_f64_e64 v[21:22], v[74:75], -v[21:22]
	v_fma_f64 v[45:46], v[45:46], 2.0, -v[15:16]
	v_fma_f64 v[19:20], v[35:36], v[112:113], -v[19:20]
	v_fma_f64 v[114:115], v[154:155], v[128:129], -v[114:115]
	;; [unrolled: 1-line block ×4, first 2 shown]
	v_add_f64_e64 v[35:36], v[6:7], -v[53:54]
	v_add_f64_e64 v[53:54], v[8:9], -v[110:111]
	v_fma_f64 v[0:1], v[0:1], 2.0, -v[11:12]
	v_add_f64_e64 v[33:34], v[59:60], -v[69:70]
	v_add_f64_e64 v[69:70], v[55:56], -v[140:141]
	v_add_f64_e32 v[100:101], v[11:12], v[37:38]
	v_add_f64_e64 v[13:14], v[160:161], -v[13:14]
	v_add_f64_e64 v[41:42], v[61:62], -v[41:42]
	;; [unrolled: 1-line block ×4, first 2 shown]
	v_fma_f64 v[2:3], v[2:3], 2.0, -v[31:32]
	v_fma_f64 v[4:5], v[4:5], 2.0, -v[27:28]
	v_add_f64_e64 v[29:30], v[156:157], -v[29:30]
	v_fma_f64 v[74:75], v[74:75], 2.0, -v[21:22]
	v_fma_f64 v[37:38], v[51:52], 2.0, -v[37:38]
	;; [unrolled: 1-line block ×3, first 2 shown]
	v_add_f64_e64 v[21:22], v[23:24], -v[21:22]
	v_add_f64_e64 v[19:20], v[63:64], -v[19:20]
	;; [unrolled: 1-line block ×5, first 2 shown]
	v_fma_f64 v[6:7], v[6:7], 2.0, -v[35:36]
	v_fma_f64 v[8:9], v[8:9], 2.0, -v[53:54]
	;; [unrolled: 1-line block ×3, first 2 shown]
	v_add_f64_e32 v[102:103], v[31:32], v[69:70]
	v_fma_f64 v[55:56], v[55:56], 2.0, -v[69:70]
	v_add_f64_e64 v[128:129], v[13:14], -v[15:16]
	v_fma_f64 v[61:62], v[61:62], 2.0, -v[41:42]
	v_fma_f64 v[49:50], v[49:50], 2.0, -v[25:26]
	;; [unrolled: 1-line block ×4, first 2 shown]
	v_add_f64_e64 v[45:46], v[2:3], -v[45:46]
	v_fma_f64 v[108:109], v[156:157], 2.0, -v[29:30]
	v_add_f64_e64 v[74:75], v[0:1], -v[74:75]
	v_add_f64_e64 v[33:34], v[25:26], -v[33:34]
	v_fma_f64 v[11:12], v[11:12], 2.0, -v[100:101]
	v_add_f64_e64 v[41:42], v[29:30], -v[41:42]
	v_fma_f64 v[23:24], v[23:24], 2.0, -v[21:22]
	v_fma_f64 v[63:64], v[63:64], 2.0, -v[19:20]
	v_add_f64_e32 v[104:105], v[27:28], v[39:40]
	v_fma_f64 v[39:40], v[114:115], 2.0, -v[39:40]
	v_fma_f64 v[69:70], v[116:117], 2.0, -v[43:44]
	;; [unrolled: 1-line block ×3, first 2 shown]
	v_add_f64_e32 v[43:44], v[35:36], v[43:44]
	v_add_f64_e32 v[47:48], v[53:54], v[47:48]
	v_add_f64_e64 v[65:66], v[19:20], -v[65:66]
	v_add_f64_e64 v[59:60], v[4:5], -v[59:60]
	v_fma_f64 v[15:16], v[31:32], 2.0, -v[102:103]
	v_add_f64_e64 v[31:32], v[51:52], -v[37:38]
	v_add_f64_e64 v[61:62], v[6:7], -v[61:62]
	;; [unrolled: 1-line block ×4, first 2 shown]
	v_fma_f64 v[2:3], v[2:3], 2.0, -v[45:46]
	v_fma_f64 v[0:1], v[0:1], 2.0, -v[74:75]
	ds_store_2addr_b64 v123, v[74:75], v[100:101] offset0:80 offset1:120
	v_fma_f64 v[25:26], v[25:26], 2.0, -v[33:34]
	v_fma_f64 v[29:30], v[29:30], 2.0, -v[41:42]
	;; [unrolled: 1-line block ×3, first 2 shown]
	v_add_f64_e64 v[39:40], v[49:50], -v[39:40]
	v_add_f64_e64 v[55:56], v[108:109], -v[69:70]
	v_add_f64_e64 v[57:58], v[63:64], -v[57:58]
	v_fma_f64 v[35:36], v[35:36], 2.0, -v[43:44]
	v_fma_f64 v[53:54], v[53:54], 2.0, -v[47:48]
	;; [unrolled: 1-line block ×9, first 2 shown]
	ds_store_2addr_b64 v123, v[0:1], v[11:12] offset1:40
	ds_store_2addr_b64 v122, v[2:3], v[15:16] offset1:40
	ds_store_2addr_b64 v122, v[45:46], v[102:103] offset0:80 offset1:120
	ds_store_2addr_b64 v67, v[4:5], v[27:28] offset1:40
	ds_store_2addr_b64 v67, v[59:60], v[104:105] offset0:80 offset1:120
	ds_store_2addr_b64 v123, v[6:7], v[8:9] offset0:168 offset1:184
	ds_store_2addr_b64 v123, v[35:36], v[53:54] offset0:208 offset1:224
	ds_store_2addr_b64 v71, v[61:62], v[78:79] offset0:120 offset1:136
	ds_store_2addr_b64 v68, v[43:44], v[47:48] offset0:32 offset1:48
	v_fma_f64 v[49:50], v[49:50], 2.0, -v[39:40]
	v_fma_f64 v[132:133], v[108:109], 2.0, -v[55:56]
	global_wb scope:SCOPE_SE
	s_wait_dscnt 0x0
	s_barrier_signal -1
	s_barrier_wait -1
	global_inv scope:SCOPE_SE
	ds_load_b64 v[111:112], v119
	ds_load_b64 v[109:110], v124
	;; [unrolled: 1-line block ×10, first 2 shown]
	ds_load_2addr_b64 v[16:19], v123 offset0:160 offset1:176
	ds_load_2addr_b64 v[12:15], v123 offset0:192 offset1:208
	;; [unrolled: 1-line block ×3, first 2 shown]
	ds_load_2addr_b64 v[4:7], v68 offset1:16
	ds_load_2addr_b64 v[0:3], v68 offset0:32 offset1:48
	v_fma_f64 v[63:64], v[63:64], 2.0, -v[57:58]
	global_wb scope:SCOPE_SE
	s_wait_dscnt 0x0
	s_barrier_signal -1
	s_barrier_wait -1
	global_inv scope:SCOPE_SE
	ds_store_2addr_b64 v123, v[51:52], v[23:24] offset1:40
	ds_store_2addr_b64 v123, v[31:32], v[21:22] offset0:80 offset1:120
	ds_store_2addr_b64 v122, v[74:75], v[69:70] offset1:40
	ds_store_2addr_b64 v122, v[37:38], v[128:129] offset0:80 offset1:120
	;; [unrolled: 2-line block ×3, first 2 shown]
	ds_store_2addr_b64 v123, v[132:133], v[63:64] offset0:168 offset1:184
	ds_store_2addr_b64 v123, v[29:30], v[130:131] offset0:208 offset1:224
	;; [unrolled: 1-line block ×4, first 2 shown]
	global_wb scope:SCOPE_SE
	s_wait_dscnt 0x0
	s_barrier_signal -1
	s_barrier_wait -1
	global_inv scope:SCOPE_SE
	s_and_saveexec_b32 s0, vcc_lo
	s_cbranch_execz .LBB0_15
; %bb.14:
	v_dual_mov_b32 v100, v77 :: v_dual_mov_b32 v93, v77
	v_dual_mov_b32 v98, v77 :: v_dual_mov_b32 v81, v77
	v_mov_b32_e32 v96, v77
	s_delay_alu instid0(VALU_DEP_3) | instskip(NEXT) | instid1(VALU_DEP_4)
	v_lshlrev_b64_e32 v[20:21], 4, v[99:100]
	v_lshlrev_b64_e32 v[30:31], 4, v[92:93]
	s_delay_alu instid0(VALU_DEP_4)
	v_lshlrev_b64_e32 v[22:23], 4, v[97:98]
	v_dual_mov_b32 v92, v77 :: v_dual_mov_b32 v87, v77
	v_lshlrev_b64_e32 v[24:25], 4, v[95:96]
	v_add_co_u32 v20, vcc_lo, s8, v20
	s_wait_alu 0xfffd
	v_add_co_ci_u32_e32 v21, vcc_lo, s9, v21, vcc_lo
	v_add_co_u32 v26, vcc_lo, s8, v22
	s_wait_alu 0xfffd
	v_add_co_ci_u32_e32 v27, vcc_lo, s9, v23, vcc_lo
	v_lshlrev_b64_e32 v[22:23], 4, v[80:81]
	v_add_co_u32 v24, vcc_lo, s8, v24
	s_wait_alu 0xfffd
	v_add_co_ci_u32_e32 v25, vcc_lo, s9, v25, vcc_lo
	v_mov_b32_e32 v95, v77
	s_delay_alu instid0(VALU_DEP_4)
	v_add_co_u32 v28, vcc_lo, s8, v22
	s_wait_alu 0xfffd
	v_add_co_ci_u32_e32 v29, vcc_lo, s9, v23, vcc_lo
	s_clause 0x3
	global_load_b128 v[44:47], v[24:25], off offset:2400
	global_load_b128 v[20:23], v[20:21], off offset:2400
	;; [unrolled: 1-line block ×4, first 2 shown]
	v_lshlrev_b64_e32 v[28:29], 4, v[94:95]
	v_add_co_u32 v30, vcc_lo, s8, v30
	s_wait_alu 0xfffd
	v_add_co_ci_u32_e32 v31, vcc_lo, s9, v31, vcc_lo
	v_lshlrev_b64_e32 v[32:33], 4, v[91:92]
	s_delay_alu instid0(VALU_DEP_4)
	v_add_co_u32 v34, vcc_lo, s8, v28
	s_wait_alu 0xfffd
	v_add_co_ci_u32_e32 v35, vcc_lo, s9, v29, vcc_lo
	v_lshlrev_b64_e32 v[28:29], 4, v[86:87]
	v_dual_mov_b32 v89, v77 :: v_dual_add_nc_u32 v130, 32, v80
	v_add_co_u32 v32, vcc_lo, s8, v32
	s_wait_alu 0xfffd
	v_add_co_ci_u32_e32 v33, vcc_lo, s9, v33, vcc_lo
	v_dual_mov_b32 v91, v77 :: v_dual_add_nc_u32 v132, 64, v80
	v_add_co_u32 v36, vcc_lo, s8, v28
	v_lshlrev_b64_e32 v[38:39], 4, v[88:89]
	s_wait_alu 0xfffd
	v_add_co_ci_u32_e32 v37, vcc_lo, s9, v29, vcc_lo
	s_clause 0x3
	global_load_b128 v[28:31], v[30:31], off offset:2400
	global_load_b128 v[40:43], v[34:35], off offset:2400
	;; [unrolled: 1-line block ×4, first 2 shown]
	v_lshlrev_b64_e32 v[32:33], 4, v[90:91]
	v_lshlrev_b64_e32 v[81:82], 4, v[82:83]
	v_add_co_u32 v34, vcc_lo, s8, v38
	s_wait_alu 0xfffd
	v_add_co_ci_u32_e32 v35, vcc_lo, s9, v39, vcc_lo
	s_delay_alu instid0(VALU_DEP_4)
	v_add_co_u32 v32, vcc_lo, s8, v32
	s_wait_alu 0xfffd
	v_add_co_ci_u32_e32 v33, vcc_lo, s9, v33, vcc_lo
	s_clause 0x1
	global_load_b128 v[36:39], v[34:35], off offset:2400
	global_load_b128 v[32:35], v[32:33], off offset:2400
	v_add_nc_u32_e32 v83, 16, v80
	v_mul_lo_u32 v76, s3, v84
	v_mul_lo_u32 v100, s2, v85
	v_mad_co_u64_u32 v[128:129], null, s2, v84, 0
	ds_load_2addr_b64 v[56:59], v68 offset1:16
	ds_load_2addr_b64 v[64:67], v123 offset0:224 offset1:240
	ds_load_2addr_b64 v[68:71], v68 offset0:32 offset1:48
	ds_load_b64 v[84:85], v73
	ds_load_b64 v[90:91], v72
	ds_load_2addr_b64 v[72:75], v123 offset0:192 offset1:208
	ds_load_b64 v[86:87], v127
	ds_load_b64 v[92:93], v126
	;; [unrolled: 1-line block ×4, first 2 shown]
	ds_load_2addr_b64 v[96:99], v123 offset0:160 offset1:176
	v_mul_hi_u32 v127, 0xcccccccd, v80
	v_add_nc_u32_e32 v131, 48, v80
	v_add_nc_u32_e32 v135, 0x70, v80
	v_mul_hi_u32 v138, 0xcccccccd, v83
	v_add_nc_u32_e32 v136, 0x80, v80
	v_mul_hi_u32 v139, 0xcccccccd, v130
	v_mul_hi_u32 v140, 0xcccccccd, v131
	v_add3_u32 v129, v129, v100, v76
	v_mul_hi_u32 v76, 0xcccccccd, v135
	v_lshrrev_b32_e32 v127, 7, v127
	v_mul_hi_u32 v100, 0xcccccccd, v136
	v_lshrrev_b32_e32 v138, 7, v138
	v_add_nc_u32_e32 v133, 0x50, v80
	v_lshrrev_b32_e32 v139, 7, v139
	v_mul_lo_u32 v145, 0xa0, v127
	v_lshrrev_b32_e32 v140, 7, v140
	v_lshrrev_b32_e32 v146, 7, v76
	v_mul_lo_u32 v76, 0xa0, v138
	v_lshlrev_b64_e32 v[127:128], 4, v[128:129]
	v_add_nc_u32_e32 v137, 0x90, v80
	v_lshrrev_b32_e32 v147, 7, v100
	v_mul_lo_u32 v100, 0xa0, v139
	v_mul_lo_u32 v129, 0xa0, v140
	v_add_nc_u32_e32 v134, 0x60, v80
	v_mul_hi_u32 v141, 0xcccccccd, v132
	v_mul_hi_u32 v142, 0xcccccccd, v133
	v_add_co_u32 v127, vcc_lo, s6, v127
	v_sub_nc_u32_e32 v80, v80, v145
	v_sub_nc_u32_e32 v76, v83, v76
	v_mul_hi_u32 v144, 0xcccccccd, v137
	s_wait_alu 0xfffd
	v_add_co_ci_u32_e32 v128, vcc_lo, s7, v128, vcc_lo
	v_add_co_u32 v172, vcc_lo, v127, v81
	v_lshlrev_b32_e32 v145, 4, v80
	v_sub_nc_u32_e32 v80, v130, v100
	v_sub_nc_u32_e32 v81, v131, v129
	v_mad_co_u64_u32 v[130:131], null, 0x140, v138, v[76:77]
	v_mov_b32_e32 v131, v77
	v_mul_hi_u32 v143, 0xcccccccd, v134
	v_lshrrev_b32_e32 v141, 7, v141
	v_lshrrev_b32_e32 v142, 7, v142
	;; [unrolled: 1-line block ×3, first 2 shown]
	v_mul_lo_u32 v151, 0xa0, v146
	v_mul_lo_u32 v152, 0xa0, v147
	;; [unrolled: 1-line block ×4, first 2 shown]
	v_lshrrev_b32_e32 v143, 7, v143
	v_mul_lo_u32 v153, 0xa0, v144
	s_wait_alu 0xfffd
	v_add_co_ci_u32_e32 v173, vcc_lo, v128, v82, vcc_lo
	v_sub_nc_u32_e32 v127, v135, v151
	v_mul_lo_u32 v150, 0xa0, v143
	v_sub_nc_u32_e32 v82, v132, v148
	v_sub_nc_u32_e32 v83, v133, v149
	v_mad_co_u64_u32 v[132:133], null, 0x140, v139, v[80:81]
	v_sub_nc_u32_e32 v129, v137, v153
	v_mov_b32_e32 v133, v77
	v_sub_nc_u32_e32 v128, v136, v152
	v_sub_nc_u32_e32 v100, v134, v150
	v_mad_co_u64_u32 v[80:81], null, 0x140, v140, v[81:82]
	v_mad_co_u64_u32 v[134:135], null, 0x140, v141, v[82:83]
	s_wait_dscnt 0x7
	v_mad_co_u64_u32 v[82:83], null, 0x140, v142, v[83:84]
	v_mad_co_u64_u32 v[138:139], null, 0x140, v146, v[127:128]
	;; [unrolled: 1-line block ×4, first 2 shown]
	v_add_co_u32 v142, vcc_lo, v172, v145
	v_dual_mov_b32 v81, v77 :: v_dual_add_nc_u32 v76, 0xa0, v130
	v_lshlrev_b64_e32 v[129:130], 4, v[130:131]
	v_mov_b32_e32 v128, v77
	v_lshlrev_b64_e32 v[148:149], 4, v[132:133]
	v_mad_co_u64_u32 v[136:137], null, 0x140, v143, v[100:101]
	s_wait_alu 0xfffd
	v_add_co_ci_u32_e32 v143, vcc_lo, 0, v173, vcc_lo
	v_lshlrev_b64_e32 v[160:161], 4, v[127:128]
	v_add_co_u32 v128, vcc_lo, v172, v129
	v_mov_b32_e32 v135, v77
	v_lshlrev_b64_e32 v[164:165], 4, v[76:77]
	v_add_nc_u32_e32 v76, 0xa0, v132
	s_wait_alu 0xfffd
	v_add_co_ci_u32_e32 v129, vcc_lo, v173, v130, vcc_lo
	v_add_co_u32 v130, vcc_lo, v172, v148
	s_wait_alu 0xfffd
	v_add_co_ci_u32_e32 v131, vcc_lo, v173, v149, vcc_lo
	v_lshlrev_b64_e32 v[150:151], 4, v[80:81]
	v_mov_b32_e32 v83, v77
	v_lshlrev_b64_e32 v[152:153], 4, v[134:135]
	v_mov_b32_e32 v137, v77
	v_mov_b32_e32 v139, v77
	ds_load_b64 v[123:124], v121
	ds_load_b64 v[121:122], v122
	;; [unrolled: 1-line block ×4, first 2 shown]
	v_mov_b32_e32 v141, v77
	s_delay_alu instid0(VALU_DEP_1)
	v_lshlrev_b64_e32 v[162:163], 4, v[140:141]
	s_wait_loadcnt 0x8
	v_mul_f64_e32 v[132:133], v[6:7], v[22:23]
	v_mul_f64_e32 v[144:145], v[18:19], v[46:47]
	s_wait_dscnt 0x4
	v_mul_f64_e32 v[46:47], v[98:99], v[46:47]
	s_wait_loadcnt 0x6
	v_mul_f64_e32 v[146:147], v[16:17], v[50:51]
	v_mul_f64_e32 v[50:51], v[96:97], v[50:51]
	v_mul_f64_e32 v[148:149], v[4:5], v[26:27]
	v_mul_f64_e32 v[26:27], v[56:57], v[26:27]
	v_mul_f64_e32 v[22:23], v[58:59], v[22:23]
	s_wait_loadcnt 0x4
	v_mul_f64_e32 v[166:167], v[8:9], v[42:43]
	s_wait_loadcnt 0x3
	v_mul_f64_e32 v[170:171], v[14:15], v[54:55]
	;; [unrolled: 2-line block ×3, first 2 shown]
	v_mul_f64_e32 v[62:63], v[72:73], v[62:63]
	v_mul_f64_e32 v[54:55], v[74:75], v[54:55]
	v_mul_f64_e32 v[42:43], v[64:65], v[42:43]
	v_fma_f64 v[98:99], v[98:99], v[44:45], -v[144:145]
	v_fma_f64 v[18:19], v[18:19], v[44:45], v[46:47]
	v_mul_f64_e32 v[44:45], v[10:11], v[30:31]
	v_fma_f64 v[46:47], v[96:97], v[48:49], -v[146:147]
	s_wait_loadcnt 0x1
	v_mul_f64_e32 v[96:97], v[0:1], v[38:39]
	v_mul_f64_e32 v[38:39], v[68:69], v[38:39]
	;; [unrolled: 1-line block ×3, first 2 shown]
	v_fma_f64 v[16:17], v[16:17], v[48:49], v[50:51]
	s_wait_loadcnt 0x0
	v_mul_f64_e32 v[48:49], v[2:3], v[34:35]
	v_mul_f64_e32 v[34:35], v[70:71], v[34:35]
	v_add_co_u32 v144, vcc_lo, v172, v150
	s_wait_alu 0xfffd
	v_add_co_ci_u32_e32 v145, vcc_lo, v173, v151, vcc_lo
	v_add_co_u32 v146, vcc_lo, v172, v152
	s_wait_alu 0xfffd
	v_add_co_ci_u32_e32 v147, vcc_lo, v173, v153, vcc_lo
	v_fma_f64 v[50:51], v[72:73], v[60:61], -v[168:169]
	v_fma_f64 v[12:13], v[12:13], v[60:61], v[62:63]
	v_fma_f64 v[60:61], v[74:75], v[52:53], -v[170:171]
	v_fma_f64 v[52:53], v[14:15], v[52:53], v[54:55]
	;; [unrolled: 2-line block ×3, first 2 shown]
	v_fma_f64 v[42:43], v[66:67], v[28:29], -v[44:45]
	v_fma_f64 v[44:45], v[58:59], v[20:21], -v[132:133]
	;; [unrolled: 1-line block ×3, first 2 shown]
	v_fma_f64 v[36:37], v[0:1], v[36:37], v[38:39]
	v_lshlrev_b64_e32 v[0:1], 4, v[76:77]
	v_add_nc_u32_e32 v76, 0xa0, v80
	v_fma_f64 v[28:29], v[10:11], v[28:29], v[30:31]
	v_lshlrev_b64_e32 v[154:155], 4, v[82:83]
	v_fma_f64 v[30:31], v[56:57], v[24:25], -v[148:149]
	v_fma_f64 v[24:25], v[4:5], v[24:25], v[26:27]
	v_lshlrev_b64_e32 v[62:63], 4, v[76:77]
	v_add_nc_u32_e32 v76, 0xa0, v134
	v_fma_f64 v[56:57], v[6:7], v[20:21], v[22:23]
	v_lshlrev_b64_e32 v[156:157], 4, v[136:137]
	v_add_co_u32 v150, vcc_lo, v172, v154
	v_fma_f64 v[38:39], v[32:33], v[70:71], -v[48:49]
	v_fma_f64 v[48:49], v[2:3], v[32:33], v[34:35]
	v_lshlrev_b64_e32 v[64:65], 4, v[76:77]
	v_add_nc_u32_e32 v76, 0xa0, v82
	v_lshlrev_b64_e32 v[158:159], 4, v[138:139]
	s_wait_alu 0xfffd
	v_add_co_ci_u32_e32 v151, vcc_lo, v173, v155, vcc_lo
	v_add_co_u32 v152, vcc_lo, v172, v156
	s_wait_alu 0xfffd
	v_add_co_ci_u32_e32 v153, vcc_lo, v173, v157, vcc_lo
	v_add_co_u32 v154, vcc_lo, v172, v158
	;; [unrolled: 3-line block ×6, first 2 shown]
	s_wait_alu 0xfffd
	v_add_co_ci_u32_e32 v135, vcc_lo, v173, v1, vcc_lo
	s_wait_dscnt 0x0
	v_add_f64_e64 v[2:3], v[119:120], -v[46:47]
	v_add_f64_e64 v[0:1], v[111:112], -v[16:17]
	;; [unrolled: 1-line block ×20, first 2 shown]
	v_add_co_u32 v82, vcc_lo, v172, v62
	v_lshlrev_b64_e32 v[40:41], 4, v[76:77]
	v_add_nc_u32_e32 v76, 0xa0, v136
	s_wait_alu 0xfffd
	v_add_co_ci_u32_e32 v83, vcc_lo, v173, v63, vcc_lo
	v_add_co_u32 v98, vcc_lo, v172, v64
	s_wait_alu 0xfffd
	v_add_co_ci_u32_e32 v99, vcc_lo, v173, v65, vcc_lo
	v_lshlrev_b64_e32 v[136:137], 4, v[76:77]
	v_add_nc_u32_e32 v76, 0xa0, v138
	v_add_co_u32 v138, vcc_lo, v172, v40
	s_wait_alu 0xfffd
	v_add_co_ci_u32_e32 v139, vcc_lo, v173, v41, vcc_lo
	s_delay_alu instid0(VALU_DEP_3)
	v_lshlrev_b64_e32 v[148:149], 4, v[76:77]
	v_add_nc_u32_e32 v76, 0xa0, v127
	v_fma_f64 v[42:43], v[119:120], 2.0, -v[2:3]
	v_fma_f64 v[40:41], v[111:112], 2.0, -v[0:1]
	;; [unrolled: 1-line block ×20, first 2 shown]
	v_lshlrev_b64_e32 v[86:87], 4, v[76:77]
	v_add_nc_u32_e32 v76, 0xa0, v140
	v_add_co_u32 v84, vcc_lo, v172, v136
	s_wait_alu 0xfffd
	v_add_co_ci_u32_e32 v85, vcc_lo, v173, v137, vcc_lo
	v_add_co_u32 v88, vcc_lo, v172, v148
	v_lshlrev_b64_e32 v[76:77], 4, v[76:77]
	s_wait_alu 0xfffd
	v_add_co_ci_u32_e32 v89, vcc_lo, v173, v149, vcc_lo
	v_add_co_u32 v86, vcc_lo, v172, v86
	s_wait_alu 0xfffd
	v_add_co_ci_u32_e32 v87, vcc_lo, v173, v87, vcc_lo
	v_add_co_u32 v76, vcc_lo, v172, v76
	s_wait_alu 0xfffd
	v_add_co_ci_u32_e32 v77, vcc_lo, v173, v77, vcc_lo
	s_clause 0x13
	global_store_b128 v[142:143], v[40:43], off
	global_store_b128 v[142:143], v[0:3], off offset:2560
	global_store_b128 v[128:129], v[44:47], off
	global_store_b128 v[132:133], v[4:7], off
	;; [unrolled: 1-line block ×18, first 2 shown]
.LBB0_15:
	s_nop 0
	s_sendmsg sendmsg(MSG_DEALLOC_VGPRS)
	s_endpgm
	.section	.rodata,"a",@progbits
	.p2align	6, 0x0
	.amdhsa_kernel fft_rtc_back_len320_factors_10_4_4_2_wgs_64_tpt_16_halfLds_dp_op_CI_CI_unitstride_sbrr_dirReg
		.amdhsa_group_segment_fixed_size 0
		.amdhsa_private_segment_fixed_size 0
		.amdhsa_kernarg_size 104
		.amdhsa_user_sgpr_count 2
		.amdhsa_user_sgpr_dispatch_ptr 0
		.amdhsa_user_sgpr_queue_ptr 0
		.amdhsa_user_sgpr_kernarg_segment_ptr 1
		.amdhsa_user_sgpr_dispatch_id 0
		.amdhsa_user_sgpr_private_segment_size 0
		.amdhsa_wavefront_size32 1
		.amdhsa_uses_dynamic_stack 0
		.amdhsa_enable_private_segment 0
		.amdhsa_system_sgpr_workgroup_id_x 1
		.amdhsa_system_sgpr_workgroup_id_y 0
		.amdhsa_system_sgpr_workgroup_id_z 0
		.amdhsa_system_sgpr_workgroup_info 0
		.amdhsa_system_vgpr_workitem_id 0
		.amdhsa_next_free_vgpr 174
		.amdhsa_next_free_sgpr 39
		.amdhsa_reserve_vcc 1
		.amdhsa_float_round_mode_32 0
		.amdhsa_float_round_mode_16_64 0
		.amdhsa_float_denorm_mode_32 3
		.amdhsa_float_denorm_mode_16_64 3
		.amdhsa_fp16_overflow 0
		.amdhsa_workgroup_processor_mode 1
		.amdhsa_memory_ordered 1
		.amdhsa_forward_progress 0
		.amdhsa_round_robin_scheduling 0
		.amdhsa_exception_fp_ieee_invalid_op 0
		.amdhsa_exception_fp_denorm_src 0
		.amdhsa_exception_fp_ieee_div_zero 0
		.amdhsa_exception_fp_ieee_overflow 0
		.amdhsa_exception_fp_ieee_underflow 0
		.amdhsa_exception_fp_ieee_inexact 0
		.amdhsa_exception_int_div_zero 0
	.end_amdhsa_kernel
	.text
.Lfunc_end0:
	.size	fft_rtc_back_len320_factors_10_4_4_2_wgs_64_tpt_16_halfLds_dp_op_CI_CI_unitstride_sbrr_dirReg, .Lfunc_end0-fft_rtc_back_len320_factors_10_4_4_2_wgs_64_tpt_16_halfLds_dp_op_CI_CI_unitstride_sbrr_dirReg
                                        ; -- End function
	.section	.AMDGPU.csdata,"",@progbits
; Kernel info:
; codeLenInByte = 11040
; NumSgprs: 41
; NumVgprs: 174
; ScratchSize: 0
; MemoryBound: 1
; FloatMode: 240
; IeeeMode: 1
; LDSByteSize: 0 bytes/workgroup (compile time only)
; SGPRBlocks: 5
; VGPRBlocks: 21
; NumSGPRsForWavesPerEU: 41
; NumVGPRsForWavesPerEU: 174
; Occupancy: 8
; WaveLimiterHint : 1
; COMPUTE_PGM_RSRC2:SCRATCH_EN: 0
; COMPUTE_PGM_RSRC2:USER_SGPR: 2
; COMPUTE_PGM_RSRC2:TRAP_HANDLER: 0
; COMPUTE_PGM_RSRC2:TGID_X_EN: 1
; COMPUTE_PGM_RSRC2:TGID_Y_EN: 0
; COMPUTE_PGM_RSRC2:TGID_Z_EN: 0
; COMPUTE_PGM_RSRC2:TIDIG_COMP_CNT: 0
	.text
	.p2alignl 7, 3214868480
	.fill 96, 4, 3214868480
	.type	__hip_cuid_d8e555ea2908d664,@object ; @__hip_cuid_d8e555ea2908d664
	.section	.bss,"aw",@nobits
	.globl	__hip_cuid_d8e555ea2908d664
__hip_cuid_d8e555ea2908d664:
	.byte	0                               ; 0x0
	.size	__hip_cuid_d8e555ea2908d664, 1

	.ident	"AMD clang version 19.0.0git (https://github.com/RadeonOpenCompute/llvm-project roc-6.4.0 25133 c7fe45cf4b819c5991fe208aaa96edf142730f1d)"
	.section	".note.GNU-stack","",@progbits
	.addrsig
	.addrsig_sym __hip_cuid_d8e555ea2908d664
	.amdgpu_metadata
---
amdhsa.kernels:
  - .args:
      - .actual_access:  read_only
        .address_space:  global
        .offset:         0
        .size:           8
        .value_kind:     global_buffer
      - .offset:         8
        .size:           8
        .value_kind:     by_value
      - .actual_access:  read_only
        .address_space:  global
        .offset:         16
        .size:           8
        .value_kind:     global_buffer
      - .actual_access:  read_only
        .address_space:  global
        .offset:         24
        .size:           8
        .value_kind:     global_buffer
      - .actual_access:  read_only
        .address_space:  global
        .offset:         32
        .size:           8
        .value_kind:     global_buffer
      - .offset:         40
        .size:           8
        .value_kind:     by_value
      - .actual_access:  read_only
        .address_space:  global
        .offset:         48
        .size:           8
        .value_kind:     global_buffer
      - .actual_access:  read_only
        .address_space:  global
        .offset:         56
        .size:           8
        .value_kind:     global_buffer
      - .offset:         64
        .size:           4
        .value_kind:     by_value
      - .actual_access:  read_only
        .address_space:  global
        .offset:         72
        .size:           8
        .value_kind:     global_buffer
      - .actual_access:  read_only
        .address_space:  global
        .offset:         80
        .size:           8
        .value_kind:     global_buffer
      - .actual_access:  read_only
        .address_space:  global
        .offset:         88
        .size:           8
        .value_kind:     global_buffer
      - .actual_access:  write_only
        .address_space:  global
        .offset:         96
        .size:           8
        .value_kind:     global_buffer
    .group_segment_fixed_size: 0
    .kernarg_segment_align: 8
    .kernarg_segment_size: 104
    .language:       OpenCL C
    .language_version:
      - 2
      - 0
    .max_flat_workgroup_size: 64
    .name:           fft_rtc_back_len320_factors_10_4_4_2_wgs_64_tpt_16_halfLds_dp_op_CI_CI_unitstride_sbrr_dirReg
    .private_segment_fixed_size: 0
    .sgpr_count:     41
    .sgpr_spill_count: 0
    .symbol:         fft_rtc_back_len320_factors_10_4_4_2_wgs_64_tpt_16_halfLds_dp_op_CI_CI_unitstride_sbrr_dirReg.kd
    .uniform_work_group_size: 1
    .uses_dynamic_stack: false
    .vgpr_count:     174
    .vgpr_spill_count: 0
    .wavefront_size: 32
    .workgroup_processor_mode: 1
amdhsa.target:   amdgcn-amd-amdhsa--gfx1201
amdhsa.version:
  - 1
  - 2
...

	.end_amdgpu_metadata
